;; amdgpu-corpus repo=ROCm/rocFFT kind=compiled arch=gfx1030 opt=O3
	.text
	.amdgcn_target "amdgcn-amd-amdhsa--gfx1030"
	.amdhsa_code_object_version 6
	.protected	bluestein_single_fwd_len351_dim1_half_op_CI_CI ; -- Begin function bluestein_single_fwd_len351_dim1_half_op_CI_CI
	.globl	bluestein_single_fwd_len351_dim1_half_op_CI_CI
	.p2align	8
	.type	bluestein_single_fwd_len351_dim1_half_op_CI_CI,@function
bluestein_single_fwd_len351_dim1_half_op_CI_CI: ; @bluestein_single_fwd_len351_dim1_half_op_CI_CI
; %bb.0:
	s_load_dwordx4 s[0:3], s[4:5], 0x28
	v_mul_u32_u24_e32 v1, 0x691, v0
	v_lshrrev_b32_e32 v1, 16, v1
	v_mad_u64_u32 v[8:9], null, s6, 3, v[1:2]
	v_mov_b32_e32 v9, 0
                                        ; kill: def $vgpr2 killed $sgpr0 killed $exec
	s_waitcnt lgkmcnt(0)
	v_cmp_gt_u64_e32 vcc_lo, s[0:1], v[8:9]
	s_and_saveexec_b32 s0, vcc_lo
	s_cbranch_execz .LBB0_15
; %bb.1:
	v_mul_hi_u32 v2, 0xaaaaaaab, v8
	s_clause 0x1
	s_load_dwordx2 s[20:21], s[4:5], 0x0
	s_load_dwordx2 s[6:7], s[4:5], 0x38
	v_mul_lo_u16 v1, v1, 39
	v_sub_nc_u16 v0, v0, v1
	v_lshrrev_b32_e32 v2, 1, v2
	v_and_b32_e32 v28, 0xffff, v0
	v_lshl_add_u32 v2, v2, 1, v2
	v_cmp_gt_u16_e32 vcc_lo, 27, v0
	v_lshlrev_b32_e32 v27, 2, v28
	v_sub_nc_u32_e32 v1, v8, v2
	v_mul_u32_u24_e32 v19, 0x15f, v1
	v_lshlrev_b32_e32 v30, 2, v19
	s_and_saveexec_b32 s1, vcc_lo
	s_cbranch_execz .LBB0_3
; %bb.2:
	s_load_dwordx2 s[8:9], s[4:5], 0x18
	v_lshl_add_u32 v34, v28, 2, v30
	v_add_nc_u32_e32 v32, v30, v27
	v_add_nc_u32_e32 v37, 0x200, v32
	s_waitcnt lgkmcnt(0)
	s_load_dwordx4 s[8:11], s[8:9], 0x0
	s_waitcnt lgkmcnt(0)
	v_mad_u64_u32 v[0:1], null, s10, v8, 0
	v_mad_u64_u32 v[2:3], null, s8, v28, 0
	s_mul_hi_u32 s10, s8, 0x6c
	v_mad_u64_u32 v[4:5], null, s11, v8, v[1:2]
	v_mad_u64_u32 v[5:6], null, s9, v28, v[3:4]
	v_mov_b32_e32 v1, v4
	s_mulk_i32 s9, 0x6c
	s_add_i32 s10, s10, s9
	v_lshlrev_b64 v[0:1], 2, v[0:1]
	v_mov_b32_e32 v3, v5
	v_add_co_u32 v0, s0, s2, v0
	v_lshlrev_b64 v[2:3], 2, v[2:3]
	v_add_co_ci_u32_e64 v1, s0, s3, v1, s0
	s_mul_i32 s2, s8, 0x6c
	v_add_co_u32 v0, s0, v0, v2
	v_add_co_ci_u32_e64 v1, s0, v1, v3, s0
	v_add_co_u32 v2, s0, v0, s2
	v_add_co_ci_u32_e64 v3, s0, s10, v1, s0
	global_load_dword v4, v[0:1], off
	v_add_co_u32 v0, s0, v2, s2
	v_add_co_ci_u32_e64 v1, s0, s10, v3, s0
	s_clause 0x1
	global_load_dword v5, v27, s[20:21]
	global_load_dword v6, v27, s[20:21] offset:108
	s_clause 0x1
	global_load_dword v7, v[2:3], off
	global_load_dword v9, v[0:1], off
	v_add_co_u32 v0, s0, v0, s2
	v_add_co_ci_u32_e64 v1, s0, s10, v1, s0
	s_clause 0x2
	global_load_dword v10, v27, s[20:21] offset:216
	global_load_dword v11, v27, s[20:21] offset:324
	;; [unrolled: 1-line block ×3, first 2 shown]
	v_add_co_u32 v2, s0, v0, s2
	v_add_co_ci_u32_e64 v3, s0, s10, v1, s0
	s_clause 0x1
	global_load_dword v13, v[0:1], off
	global_load_dword v14, v[2:3], off
	v_add_co_u32 v0, s0, v2, s2
	v_add_co_ci_u32_e64 v1, s0, s10, v3, s0
	v_add_co_u32 v2, s0, v0, s2
	v_add_co_ci_u32_e64 v3, s0, s10, v1, s0
	s_clause 0x2
	global_load_dword v15, v27, s[20:21] offset:540
	global_load_dword v16, v27, s[20:21] offset:648
	;; [unrolled: 1-line block ×3, first 2 shown]
	global_load_dword v18, v[0:1], off
	global_load_dword v20, v[2:3], off
	v_add_co_u32 v0, s0, v2, s2
	v_add_co_ci_u32_e64 v1, s0, s10, v3, s0
	s_clause 0x1
	global_load_dword v21, v27, s[20:21] offset:864
	global_load_dword v22, v27, s[20:21] offset:972
	v_add_co_u32 v2, s0, v0, s2
	v_add_co_ci_u32_e64 v3, s0, s10, v1, s0
	global_load_dword v23, v[0:1], off
	v_add_co_u32 v0, s0, v2, s2
	v_add_co_ci_u32_e64 v1, s0, s10, v3, s0
	global_load_dword v24, v[2:3], off
	;; [unrolled: 3-line block ×4, first 2 shown]
	v_add_co_u32 v2, s0, v0, s2
	v_add_co_ci_u32_e64 v3, s0, s10, v1, s0
	global_load_dword v29, v27, s[20:21] offset:1080
	global_load_dword v0, v[0:1], off
	global_load_dword v1, v[2:3], off
	s_clause 0x1
	global_load_dword v2, v27, s[20:21] offset:1188
	global_load_dword v3, v27, s[20:21] offset:1296
	s_waitcnt vmcnt(25)
	v_lshrrev_b32_e32 v31, 16, v4
	s_waitcnt vmcnt(24)
	v_mul_f16_sdwa v33, v5, v4 dst_sel:DWORD dst_unused:UNUSED_PAD src0_sel:WORD_1 src1_sel:DWORD
	s_waitcnt vmcnt(22)
	v_lshrrev_b32_e32 v36, 16, v7
	v_mul_f16_sdwa v35, v5, v31 dst_sel:DWORD dst_unused:UNUSED_PAD src0_sel:WORD_1 src1_sel:DWORD
	v_fma_f16 v31, v5, v31, -v33
	v_mul_f16_sdwa v33, v6, v7 dst_sel:DWORD dst_unused:UNUSED_PAD src0_sel:WORD_1 src1_sel:DWORD
	s_waitcnt vmcnt(20)
	v_mul_f16_sdwa v38, v10, v9 dst_sel:DWORD dst_unused:UNUSED_PAD src0_sel:WORD_1 src1_sel:DWORD
	v_fmac_f16_e32 v35, v5, v4
	v_mul_f16_sdwa v4, v6, v36 dst_sel:DWORD dst_unused:UNUSED_PAD src0_sel:WORD_1 src1_sel:DWORD
	v_lshrrev_b32_e32 v5, 16, v9
	v_fma_f16 v33, v6, v36, -v33
	v_pack_b32_f16 v31, v35, v31
	v_fmac_f16_e32 v4, v6, v7
	v_mul_f16_sdwa v6, v10, v5 dst_sel:DWORD dst_unused:UNUSED_PAD src0_sel:WORD_1 src1_sel:DWORD
	s_waitcnt vmcnt(17)
	v_lshrrev_b32_e32 v7, 16, v13
	v_fma_f16 v5, v10, v5, -v38
	v_mul_f16_sdwa v35, v11, v13 dst_sel:DWORD dst_unused:UNUSED_PAD src0_sel:WORD_1 src1_sel:DWORD
	ds_write_b32 v34, v31
	v_fmac_f16_e32 v6, v10, v9
	v_mul_f16_sdwa v9, v11, v7 dst_sel:DWORD dst_unused:UNUSED_PAD src0_sel:WORD_1 src1_sel:DWORD
	s_waitcnt vmcnt(16)
	v_lshrrev_b32_e32 v10, 16, v14
	v_pack_b32_f16 v4, v4, v33
	v_mul_f16_sdwa v31, v12, v14 dst_sel:DWORD dst_unused:UNUSED_PAD src0_sel:WORD_1 src1_sel:DWORD
	v_fma_f16 v7, v11, v7, -v35
	v_pack_b32_f16 v5, v6, v5
	v_fmac_f16_e32 v9, v11, v13
	v_mul_f16_sdwa v6, v12, v10 dst_sel:DWORD dst_unused:UNUSED_PAD src0_sel:WORD_1 src1_sel:DWORD
	s_waitcnt vmcnt(12)
	v_lshrrev_b32_e32 v11, 16, v18
	v_fma_f16 v10, v12, v10, -v31
	v_mul_f16_sdwa v13, v15, v18 dst_sel:DWORD dst_unused:UNUSED_PAD src0_sel:WORD_1 src1_sel:DWORD
	ds_write2_b32 v32, v4, v5 offset0:27 offset1:54
	v_pack_b32_f16 v4, v9, v7
	v_fmac_f16_e32 v6, v12, v14
	v_mul_f16_sdwa v5, v15, v11 dst_sel:DWORD dst_unused:UNUSED_PAD src0_sel:WORD_1 src1_sel:DWORD
	s_waitcnt vmcnt(11)
	v_lshrrev_b32_e32 v7, 16, v20
	v_fma_f16 v9, v15, v11, -v13
	v_mul_f16_sdwa v11, v16, v20 dst_sel:DWORD dst_unused:UNUSED_PAD src0_sel:WORD_1 src1_sel:DWORD
	v_pack_b32_f16 v6, v6, v10
	v_fmac_f16_e32 v5, v15, v18
	v_mul_f16_sdwa v10, v16, v7 dst_sel:DWORD dst_unused:UNUSED_PAD src0_sel:WORD_1 src1_sel:DWORD
	s_waitcnt vmcnt(8)
	v_lshrrev_b32_e32 v12, 16, v23
	v_mul_f16_sdwa v13, v17, v23 dst_sel:DWORD dst_unused:UNUSED_PAD src0_sel:WORD_1 src1_sel:DWORD
	v_fma_f16 v7, v16, v7, -v11
	v_pack_b32_f16 v5, v5, v9
	v_fmac_f16_e32 v10, v16, v20
	v_mul_f16_sdwa v9, v17, v12 dst_sel:DWORD dst_unused:UNUSED_PAD src0_sel:WORD_1 src1_sel:DWORD
	v_fma_f16 v11, v17, v12, -v13
	s_waitcnt vmcnt(7)
	v_lshrrev_b32_e32 v12, 16, v24
	v_mul_f16_sdwa v13, v21, v24 dst_sel:DWORD dst_unused:UNUSED_PAD src0_sel:WORD_1 src1_sel:DWORD
	v_pack_b32_f16 v7, v10, v7
	v_fmac_f16_e32 v9, v17, v23
	s_waitcnt vmcnt(6)
	v_lshrrev_b32_e32 v10, 16, v25
	v_mul_f16_sdwa v14, v21, v12 dst_sel:DWORD dst_unused:UNUSED_PAD src0_sel:WORD_1 src1_sel:DWORD
	v_fma_f16 v12, v21, v12, -v13
	v_mul_f16_sdwa v13, v22, v25 dst_sel:DWORD dst_unused:UNUSED_PAD src0_sel:WORD_1 src1_sel:DWORD
	s_waitcnt vmcnt(5)
	v_lshrrev_b32_e32 v15, 16, v26
	v_pack_b32_f16 v9, v9, v11
	v_mul_f16_sdwa v11, v22, v10 dst_sel:DWORD dst_unused:UNUSED_PAD src0_sel:WORD_1 src1_sel:DWORD
	s_waitcnt vmcnt(3)
	v_lshrrev_b32_e32 v16, 16, v0
	v_fma_f16 v10, v22, v10, -v13
	v_mul_f16_sdwa v13, v29, v26 dst_sel:DWORD dst_unused:UNUSED_PAD src0_sel:WORD_1 src1_sel:DWORD
	s_waitcnt vmcnt(2)
	v_lshrrev_b32_e32 v18, 16, v1
	v_mul_f16_sdwa v17, v29, v15 dst_sel:DWORD dst_unused:UNUSED_PAD src0_sel:WORD_1 src1_sel:DWORD
	v_fmac_f16_e32 v14, v21, v24
	v_fmac_f16_e32 v11, v22, v25
	v_fma_f16 v13, v29, v15, -v13
	s_waitcnt vmcnt(1)
	v_mul_f16_sdwa v15, v2, v0 dst_sel:DWORD dst_unused:UNUSED_PAD src0_sel:WORD_1 src1_sel:DWORD
	v_mul_f16_sdwa v20, v2, v16 dst_sel:DWORD dst_unused:UNUSED_PAD src0_sel:WORD_1 src1_sel:DWORD
	s_waitcnt vmcnt(0)
	v_mul_f16_sdwa v21, v3, v1 dst_sel:DWORD dst_unused:UNUSED_PAD src0_sel:WORD_1 src1_sel:DWORD
	v_mul_f16_sdwa v22, v3, v18 dst_sel:DWORD dst_unused:UNUSED_PAD src0_sel:WORD_1 src1_sel:DWORD
	v_fmac_f16_e32 v17, v29, v26
	v_fma_f16 v15, v2, v16, -v15
	v_fmac_f16_e32 v20, v2, v0
	v_fma_f16 v0, v3, v18, -v21
	v_fmac_f16_e32 v22, v3, v1
	v_pack_b32_f16 v1, v14, v12
	v_pack_b32_f16 v2, v11, v10
	;; [unrolled: 1-line block ×5, first 2 shown]
	v_add_nc_u32_e32 v11, 0x400, v32
	ds_write2_b32 v32, v4, v6 offset0:81 offset1:108
	ds_write2_b32 v32, v5, v7 offset0:135 offset1:162
	;; [unrolled: 1-line block ×5, first 2 shown]
.LBB0_3:
	s_or_b32 exec_lo, exec_lo, s1
	s_clause 0x1
	s_load_dwordx2 s[0:1], s[4:5], 0x20
	s_load_dwordx2 s[4:5], s[4:5], 0x8
	v_mov_b32_e32 v4, 0
	s_waitcnt lgkmcnt(0)
	s_barrier
	buffer_gl0_inv
                                        ; implicit-def: $vgpr17
                                        ; implicit-def: $vgpr1
                                        ; implicit-def: $vgpr3
                                        ; implicit-def: $vgpr7
                                        ; implicit-def: $vgpr14
                                        ; implicit-def: $vgpr16
                                        ; kill: def $vgpr0 killed $sgpr0 killed $exec
	s_and_saveexec_b32 s2, vcc_lo
	s_cbranch_execz .LBB0_5
; %bb.4:
	v_lshl_add_u32 v9, v19, 2, v27
	v_add_nc_u32_e32 v0, 0x400, v9
	ds_read2_b32 v[4:5], v9 offset1:27
	ds_read2_b32 v[15:16], v9 offset0:54 offset1:81
	ds_read2_b32 v[13:14], v9 offset0:108 offset1:135
	;; [unrolled: 1-line block ×5, first 2 shown]
	ds_read_b32 v17, v9 offset:1296
.LBB0_5:
	s_or_b32 exec_lo, exec_lo, s2
	s_waitcnt lgkmcnt(0)
	v_pk_add_f16 v20, v5, v17 neg_lo:[0,1] neg_hi:[0,1]
	v_pk_add_f16 v18, v17, v5
	v_mov_b32_e32 v10, 0xbbf1
	v_mov_b32_e32 v9, 0xb770
	;; [unrolled: 1-line block ×3, first 2 shown]
	v_mul_f16_e32 v46, 0xbbf1, v20
	v_lshrrev_b32_e32 v49, 16, v18
	v_mul_f16_sdwa v42, v20, v10 dst_sel:DWORD dst_unused:UNUSED_PAD src0_sel:WORD_1 src1_sel:DWORD
	v_mul_f16_sdwa v38, v20, v9 dst_sel:DWORD dst_unused:UNUSED_PAD src0_sel:WORD_1 src1_sel:DWORD
	v_mul_f16_e32 v41, 0xba95, v20
	v_mov_b32_e32 v32, 0xba95
	v_fma_f16 v22, v49, 0x2fb7, -v46
	v_fmamk_f16 v21, v18, 0x2fb7, v42
	v_mov_b32_e32 v33, 0xb3a8
	v_fmamk_f16 v9, v18, 0x3b15, v38
	v_mul_f16_sdwa v50, v20, v11 dst_sel:DWORD dst_unused:UNUSED_PAD src0_sel:WORD_1 src1_sel:DWORD
	v_add_f16_sdwa v24, v22, v4 dst_sel:DWORD dst_unused:UNUSED_PAD src0_sel:DWORD src1_sel:WORD_1
	v_add_f16_e32 v23, v21, v4
	v_pk_add_f16 v22, v15, v1 neg_lo:[0,1] neg_hi:[0,1]
	v_pk_add_f16 v21, v1, v15
	v_fma_f16 v12, v49, 0x388b, -v41
	v_mov_b32_e32 v31, 0x394e
	v_add_f16_e32 v9, v9, v4
	v_mul_f16_sdwa v40, v22, v32 dst_sel:DWORD dst_unused:UNUSED_PAD src0_sel:WORD_1 src1_sel:DWORD
	v_lshrrev_b32_e32 v51, 16, v21
	v_mul_f16_e32 v44, 0xbb7b, v22
	v_mul_f16_sdwa v45, v22, v33 dst_sel:DWORD dst_unused:UNUSED_PAD src0_sel:WORD_1 src1_sel:DWORD
	v_mul_f16_e32 v48, 0xb3a8, v22
	v_mul_f16_e32 v54, 0xbb7b, v20
	v_add_f16_sdwa v12, v12, v4 dst_sel:DWORD dst_unused:UNUSED_PAD src0_sel:DWORD src1_sel:WORD_1
	v_fmamk_f16 v25, v18, 0xb5ac, v50
	v_fmamk_f16 v29, v21, 0x388b, v40
	v_fma_f16 v34, v51, 0xb5ac, -v44
	v_fmamk_f16 v35, v21, 0xbbc4, v45
	v_fma_f16 v36, v51, 0xbbc4, -v48
	v_mul_f16_sdwa v55, v22, v31 dst_sel:DWORD dst_unused:UNUSED_PAD src0_sel:WORD_1 src1_sel:DWORD
	v_fma_f16 v26, v49, 0xb5ac, -v54
	v_add_f16_e32 v25, v25, v4
	v_add_f16_e32 v9, v29, v9
	;; [unrolled: 1-line block ×5, first 2 shown]
	v_mul_f16_e32 v59, 0x394e, v22
	v_fmamk_f16 v24, v21, 0xb9fd, v55
	v_pk_add_f16 v23, v16, v0 neg_lo:[0,1] neg_hi:[0,1]
	v_mov_b32_e32 v29, 0x3b7b
	v_mov_b32_e32 v35, 0x3770
	v_add_f16_sdwa v26, v26, v4 dst_sel:DWORD dst_unused:UNUSED_PAD src0_sel:DWORD src1_sel:WORD_1
	v_fma_f16 v36, v51, 0xb9fd, -v59
	v_add_f16_e32 v37, v24, v25
	v_pk_add_f16 v25, v0, v16
	v_mul_f16_sdwa v47, v23, v29 dst_sel:DWORD dst_unused:UNUSED_PAD src0_sel:WORD_1 src1_sel:DWORD
	v_mul_f16_sdwa v57, v23, v35 dst_sel:DWORD dst_unused:UNUSED_PAD src0_sel:WORD_1 src1_sel:DWORD
	v_pk_add_f16 v29, v13, v3 neg_lo:[0,1] neg_hi:[0,1]
	v_mul_f16_sdwa v43, v23, v10 dst_sel:DWORD dst_unused:UNUSED_PAD src0_sel:WORD_1 src1_sel:DWORD
	v_add_f16_e32 v36, v36, v26
	v_fmamk_f16 v26, v25, 0xb5ac, v47
	v_fmamk_f16 v39, v25, 0x3b15, v57
	v_pk_add_f16 v24, v3, v13
	v_mul_f16_sdwa v52, v29, v35 dst_sel:DWORD dst_unused:UNUSED_PAD src0_sel:WORD_1 src1_sel:DWORD
	v_mul_f16_sdwa v61, v29, v10 dst_sel:DWORD dst_unused:UNUSED_PAD src0_sel:WORD_1 src1_sel:DWORD
	v_fmamk_f16 v10, v25, 0x2fb7, v43
	v_add_f16_e32 v31, v26, v31
	v_add_f16_e32 v35, v39, v37
	v_fmamk_f16 v37, v24, 0x3b15, v52
	v_pk_add_f16 v26, v14, v2 neg_lo:[0,1] neg_hi:[0,1]
	v_add_f16_e32 v62, v10, v9
	v_mov_b32_e32 v9, 0x33a8
	v_fmamk_f16 v39, v24, 0x2fb7, v61
	v_add_f16_e32 v10, v37, v31
	v_pk_add_f16 v31, v2, v14
	v_mul_f16_sdwa v53, v26, v32 dst_sel:DWORD dst_unused:UNUSED_PAD src0_sel:WORD_1 src1_sel:DWORD
	v_mul_f16_sdwa v63, v26, v9 dst_sel:DWORD dst_unused:UNUSED_PAD src0_sel:WORD_1 src1_sel:DWORD
	v_mov_b32_e32 v32, 0xb94e
	v_pk_add_f16 v37, v6, v7 neg_lo:[0,1] neg_hi:[0,1]
	v_mov_b32_e32 v9, 0x3a95
	v_add_f16_e32 v35, v39, v35
	v_fmamk_f16 v58, v31, 0x388b, v53
	v_fmamk_f16 v60, v31, 0xbbc4, v63
	v_pk_add_f16 v39, v7, v6
	v_mul_f16_sdwa v56, v37, v32 dst_sel:DWORD dst_unused:UNUSED_PAD src0_sel:WORD_1 src1_sel:DWORD
	v_mul_f16_sdwa v64, v37, v9 dst_sel:DWORD dst_unused:UNUSED_PAD src0_sel:WORD_1 src1_sel:DWORD
	v_lshrrev_b32_e32 v80, 16, v25
	v_mul_f16_e32 v65, 0xb3a8, v23
	v_add_f16_e32 v9, v58, v10
	v_add_f16_e32 v35, v60, v35
	v_fmamk_f16 v10, v39, 0xb9fd, v56
	v_fmamk_f16 v58, v39, 0x388b, v64
	v_mul_f16_e32 v76, 0x3b7b, v23
	v_fma_f16 v60, v80, 0xbbc4, -v65
	v_mul_f16_e32 v88, 0x3770, v23
	v_add_f16_e32 v10, v10, v9
	v_add_f16_e32 v9, v58, v35
	v_fma_f16 v35, v80, 0xb5ac, -v76
	v_mul_f16_sdwa v58, v29, v11 dst_sel:DWORD dst_unused:UNUSED_PAD src0_sel:WORD_1 src1_sel:DWORD
	v_add_f16_e32 v12, v60, v12
	v_fma_f16 v60, v80, 0x3b15, -v88
	v_lshrrev_b32_e32 v83, 16, v24
	v_mul_f16_e32 v69, 0x394e, v29
	v_mul_f16_e32 v82, 0x3770, v29
	v_add_f16_e32 v11, v35, v34
	v_fmamk_f16 v35, v24, 0xb5ac, v58
	v_mul_f16_e32 v89, 0xbbf1, v29
	v_add_f16_e32 v34, v60, v36
	v_fma_f16 v36, v83, 0xb9fd, -v69
	v_fma_f16 v66, v83, 0x3b15, -v82
	v_mul_f16_sdwa v60, v26, v32 dst_sel:DWORD dst_unused:UNUSED_PAD src0_sel:WORD_1 src1_sel:DWORD
	v_add_f16_e32 v32, v35, v62
	v_fma_f16 v35, v83, 0x2fb7, -v89
	v_pk_mul_f16 v72, 0x3b15388b, v18
	v_add_f16_e32 v12, v36, v12
	v_add_f16_e32 v11, v66, v11
	v_fmamk_f16 v36, v31, 0xb9fd, v60
	v_lshrrev_b32_e32 v87, 16, v31
	v_mul_f16_e32 v71, 0x3bf1, v26
	v_add_f16_e32 v34, v35, v34
	v_pk_mul_f16 v35, 0x388bb5ac, v21
	v_pk_fma_f16 v66, 0xba95b770, v20, v72 op_sel:[0,0,1] op_sel_hi:[1,1,0]
	v_mul_f16_e32 v91, 0x33a8, v26
	v_add_f16_e32 v32, v36, v32
	v_fma_f16 v36, v87, 0x2fb7, -v71
	v_mul_f16_e32 v84, 0xba95, v26
	v_pk_fma_f16 v67, 0xbb7bba95, v22, v35 op_sel:[0,0,1] op_sel_hi:[1,1,0]
	v_add_f16_sdwa v62, v66, v4 dst_sel:DWORD dst_unused:UNUSED_PAD src0_sel:WORD_1 src1_sel:DWORD
	v_fma_f16 v73, v87, 0xbbc4, -v91
	v_add_f16_e32 v36, v36, v12
	v_fma_f16 v12, v87, 0x388b, -v84
	v_pk_mul_f16 v77, 0x2fb7bbc4, v25
	v_add_f16_sdwa v70, v67, v62 dst_sel:DWORD dst_unused:UNUSED_PAD src0_sel:WORD_1 src1_sel:DWORD
	v_mul_f16_sdwa v62, v37, v33 dst_sel:DWORD dst_unused:UNUSED_PAD src0_sel:WORD_1 src1_sel:DWORD
	v_add_f16_e32 v33, v73, v34
	v_pk_fma_f16 v73, 0xba95b770, v20, v72 op_sel:[0,0,1] op_sel_hi:[1,1,0] neg_lo:[0,1,0] neg_hi:[0,1,0]
	v_add_f16_e32 v93, v12, v11
	v_pk_fma_f16 v75, 0xbb7bba95, v22, v35 op_sel:[0,0,1] op_sel_hi:[1,1,0] neg_lo:[0,1,0] neg_hi:[0,1,0]
	v_fmamk_f16 v12, v39, 0xbbc4, v62
	v_pk_fma_f16 v68, 0xb3a8bbf1, v23, v77 op_sel:[0,0,1] op_sel_hi:[1,1,0]
	v_add_f16_sdwa v35, v73, v4 dst_sel:DWORD dst_unused:UNUSED_PAD src0_sel:DWORD src1_sel:WORD_1
	v_pk_mul_f16 v78, 0xb5acb9fd, v24
	v_pk_fma_f16 v77, 0xb3a8bbf1, v23, v77 op_sel:[0,0,1] op_sel_hi:[1,1,0] neg_lo:[0,1,0] neg_hi:[0,1,0]
	v_add_f16_e32 v12, v12, v32
	v_add_f16_sdwa v11, v68, v70 dst_sel:DWORD dst_unused:UNUSED_PAD src0_sel:WORD_1 src1_sel:DWORD
	v_add_f16_e32 v32, v75, v35
	v_pk_fma_f16 v70, 0x394ebb7b, v29, v78 op_sel:[0,0,1] op_sel_hi:[1,1,0]
	v_pk_mul_f16 v34, 0xb9fd2fb7, v31
	v_pk_fma_f16 v79, 0x394ebb7b, v29, v78 op_sel:[0,0,1] op_sel_hi:[1,1,0] neg_lo:[0,1,0] neg_hi:[0,1,0]
	v_pk_mul_f16 v94, 0xbbc43b15, v39
	v_add_f16_e32 v32, v77, v32
	v_add_f16_sdwa v11, v70, v11 dst_sel:DWORD dst_unused:UNUSED_PAD src0_sel:WORD_1 src1_sel:DWORD
	v_pk_fma_f16 v74, 0x3bf1b94e, v26, v34 op_sel:[0,0,1] op_sel_hi:[1,1,0]
	v_lshrrev_b32_e32 v90, 16, v39
	v_mul_f16_e32 v85, 0x3770, v37
	v_mul_f16_e32 v86, 0xb94e, v37
	;; [unrolled: 1-line block ×3, first 2 shown]
	v_pk_fma_f16 v81, 0x3bf1b94e, v26, v34 op_sel:[0,0,1] op_sel_hi:[1,1,0] neg_lo:[0,1,0] neg_hi:[0,1,0]
	v_add_f16_e32 v32, v79, v32
	v_add_f16_sdwa v11, v74, v11 dst_sel:DWORD dst_unused:UNUSED_PAD src0_sel:WORD_1 src1_sel:DWORD
	v_pk_fma_f16 v72, 0x3770b3a8, v37, v94 op_sel:[0,0,1] op_sel_hi:[1,1,0]
	v_fma_f16 v34, v90, 0x3b15, -v85
	v_fma_f16 v35, v90, 0xb9fd, -v86
	;; [unrolled: 1-line block ×3, first 2 shown]
	v_pk_fma_f16 v78, 0x3770b3a8, v37, v94 op_sel:[0,0,1] op_sel_hi:[1,1,0] neg_lo:[0,1,0] neg_hi:[0,1,0]
	v_add_f16_e32 v32, v81, v32
	v_add_f16_sdwa v11, v72, v11 dst_sel:DWORD dst_unused:UNUSED_PAD src0_sel:WORD_1 src1_sel:DWORD
	v_add_f16_e32 v34, v34, v36
	v_add_f16_e32 v35, v35, v93
	;; [unrolled: 1-line block ×4, first 2 shown]
	v_mul_lo_u16 v32, v28, 13
	s_barrier
	buffer_gl0_inv
	s_and_saveexec_b32 s2, vcc_lo
	s_cbranch_execz .LBB0_7
; %bb.6:
	v_mul_f16_e32 v94, 0xb9fd, v51
	v_mul_f16_e32 v98, 0xb5ac, v18
	;; [unrolled: 1-line block ×5, first 2 shown]
	v_add_f16_e32 v59, v59, v94
	v_mul_f16_e32 v94, 0xb9fd, v21
	v_sub_f16_e32 v50, v98, v50
	v_add_f16_e32 v54, v54, v93
	v_mul_f16_e32 v93, 0xbbc4, v87
	v_alignbit_b32 v97, v4, v4, 16
	v_sub_f16_e32 v55, v94, v55
	v_add_f16_e32 v50, v50, v4
	v_add_f16_sdwa v54, v54, v4 dst_sel:DWORD dst_unused:UNUSED_PAD src0_sel:DWORD src1_sel:WORD_1
	v_add_f16_e32 v91, v91, v93
	v_mul_f16_e32 v93, 0xb5ac, v51
	v_add_f16_e32 v41, v41, v100
	v_add_f16_e32 v50, v55, v50
	v_mul_f16_e32 v55, 0x2fb7, v24
	v_mul_f16_e32 v96, 0x2fb7, v83
	v_add_f16_e32 v88, v88, v95
	v_add_f16_e32 v54, v59, v54
	v_mul_f16_e32 v51, 0xbbc4, v51
	v_sub_f16_e32 v55, v55, v61
	v_mul_f16_e32 v61, 0xbbc4, v80
	v_add_f16_sdwa v41, v41, v4 dst_sel:DWORD dst_unused:UNUSED_PAD src0_sel:DWORD src1_sel:WORD_1
	v_add_f16_e32 v44, v44, v93
	v_pk_add_f16 v5, v5, v97 op_sel:[0,1] op_sel_hi:[1,0]
	v_add_f16_e32 v89, v89, v96
	v_add_f16_e32 v54, v88, v54
	v_mul_f16_e32 v80, 0xb5ac, v80
	v_add_f16_e32 v48, v48, v51
	v_mul_f16_e32 v51, 0xb9fd, v83
	v_add_f16_e32 v41, v44, v41
	v_add_f16_e32 v44, v65, v61
	v_pk_add_f16 v5, v15, v5
	v_mul_f16_e32 v99, 0x3b15, v18
	v_mul_f16_e32 v101, 0x2fb7, v18
	;; [unrolled: 1-line block ×4, first 2 shown]
	v_add_f16_e32 v54, v89, v54
	v_mul_f16_e32 v89, 0x388b, v90
	v_mul_f16_e32 v83, 0x3b15, v83
	v_add_f16_e32 v76, v76, v80
	v_mul_f16_e32 v80, 0x2fb7, v87
	v_add_f16_e32 v41, v44, v41
	v_add_f16_e32 v44, v69, v51
	v_pk_add_f16 v5, v16, v5
	v_mul_f16_e32 v88, 0x388b, v21
	v_sub_f16_e32 v57, v59, v57
	v_add_f16_e32 v54, v91, v54
	v_add_f16_e32 v59, v92, v89
	v_mul_f16_e32 v89, 0xbbc4, v21
	v_add_f16_e32 v46, v46, v49
	v_add_f16_e32 v82, v82, v83
	v_mul_f16_e32 v83, 0x3b15, v90
	v_sub_f16_e32 v42, v101, v42
	v_add_f16_e32 v41, v44, v41
	v_add_f16_e32 v15, v71, v80
	v_sub_f16_e32 v38, v99, v38
	v_pk_add_f16 v5, v13, v5
	v_add_f16_e32 v50, v57, v50
	v_mul_f16_e32 v57, 0x2fb7, v25
	v_mul_f16_e32 v49, 0xb5ac, v25
	v_add_f16_e32 v54, v59, v54
	v_mul_f16_e32 v59, 0xbbc4, v31
	v_add_f16_sdwa v46, v46, v4 dst_sel:DWORD dst_unused:UNUSED_PAD src0_sel:DWORD src1_sel:WORD_1
	v_add_f16_e32 v42, v42, v4
	v_sub_f16_e32 v45, v89, v45
	v_add_f16_e32 v15, v15, v41
	v_add_f16_e32 v16, v85, v83
	;; [unrolled: 1-line block ×3, first 2 shown]
	v_sub_f16_e32 v38, v88, v40
	v_pk_add_f16 v5, v14, v5
	v_add_f16_e32 v50, v55, v50
	v_mul_f16_e32 v55, 0xb5ac, v24
	v_sub_f16_e32 v59, v59, v63
	v_mul_f16_e32 v63, 0x3b15, v24
	v_add_f16_e32 v42, v45, v42
	v_sub_f16_e32 v45, v49, v47
	v_add_f16_e32 v15, v16, v15
	v_add_f16_e32 v4, v38, v4
	v_sub_f16_e32 v14, v57, v43
	v_bfi_b32 v16, 0xffff, v66, v73
	v_pk_add_f16 v5, v6, v5
	v_add_f16_e32 v46, v48, v46
	v_mul_f16_e32 v48, 0xb9fd, v31
	v_add_f16_e32 v50, v59, v50
	v_mul_f16_e32 v59, 0x388b, v31
	v_add_f16_e32 v42, v45, v42
	v_sub_f16_e32 v45, v63, v52
	v_bfi_b32 v38, 0xffff, v67, v75
	v_add_f16_e32 v4, v14, v4
	v_sub_f16_e32 v6, v55, v58
	v_pk_add_f16 v5, v7, v5
	v_pk_add_f16 v7, v16, v97
	v_add_f16_e32 v46, v76, v46
	v_mul_f16_e32 v76, 0xbbc4, v39
	v_mul_f16_e32 v92, 0xb9fd, v39
	v_add_f16_e32 v42, v45, v42
	v_sub_f16_e32 v45, v59, v53
	v_bfi_b32 v41, 0xffff, v68, v77
	v_add_f16_e32 v4, v6, v4
	v_sub_f16_e32 v6, v48, v60
	v_pk_add_f16 v2, v2, v5
	v_pk_add_f16 v5, v38, v7
	v_pk_mul_f16 v7, 0xbbc4, v18 op_sel_hi:[0,1]
	v_add_f16_e32 v42, v45, v42
	v_sub_f16_e32 v44, v92, v56
	v_bfi_b32 v14, 0xffff, v70, v79
	v_add_f16_e32 v4, v6, v4
	v_sub_f16_e32 v6, v76, v62
	v_pk_add_f16 v2, v3, v2
	v_pk_add_f16 v3, v41, v5
	v_pk_fma_f16 v5, 0xb3a8, v20, v7 op_sel:[0,0,1] op_sel_hi:[0,1,0] neg_lo:[0,1,0] neg_hi:[0,1,0]
	v_pk_mul_f16 v38, 0x3b15, v21 op_sel_hi:[0,1]
	v_mul_f16_e32 v87, 0x388b, v87
	v_add_f16_e32 v40, v44, v42
	v_bfi_b32 v42, 0xffff, v74, v81
	v_add_f16_e32 v4, v6, v4
	v_pk_add_f16 v0, v0, v2
	v_pk_add_f16 v2, v14, v3
	;; [unrolled: 1-line block ×3, first 2 shown]
	v_pk_fma_f16 v5, 0x3770, v22, v38 op_sel:[0,0,1] op_sel_hi:[0,1,0] neg_lo:[0,1,0] neg_hi:[0,1,0]
	v_pk_mul_f16 v6, 0xb9fd, v25 op_sel_hi:[0,1]
	v_mul_f16_e32 v90, 0xb9fd, v90
	v_add_f16_e32 v46, v82, v46
	v_add_f16_e32 v47, v84, v87
	v_bfi_b32 v16, 0xffff, v72, v78
	v_pk_add_f16 v0, v1, v0
	v_pk_add_f16 v1, v42, v2
	;; [unrolled: 1-line block ×3, first 2 shown]
	v_pk_fma_f16 v3, 0xb94e, v23, v6 op_sel:[0,0,1] op_sel_hi:[0,1,0] neg_lo:[0,1,0] neg_hi:[0,1,0]
	v_pk_mul_f16 v5, 0x388b, v24 op_sel_hi:[0,1]
	v_add_f16_e32 v46, v47, v46
	v_add_f16_e32 v47, v86, v90
	v_pk_add_f16 v1, v16, v1
	v_pk_add_f16 v2, v3, v2
	v_pk_fma_f16 v3, 0x3a95, v29, v5 op_sel:[0,0,1] op_sel_hi:[0,1,0] neg_lo:[0,1,0] neg_hi:[0,1,0]
	v_pk_mul_f16 v16, 0xb5ac, v31 op_sel_hi:[0,1]
	v_add_f16_e32 v13, v47, v46
	v_pk_add_f16 v0, v17, v0
	v_pk_mul_f16 v17, 0x2fb7, v39 op_sel_hi:[0,1]
	v_pk_add_f16 v2, v3, v2
	v_pk_fma_f16 v3, 0xbb7b, v26, v16 op_sel:[0,0,1] op_sel_hi:[0,1,0] neg_lo:[0,1,0] neg_hi:[0,1,0]
	v_pk_fma_f16 v7, 0xb3a8, v20, v7 op_sel:[0,0,1] op_sel_hi:[0,1,0]
	v_pk_mul_f16 v20, 0xb94e, v20 op_sel_hi:[0,1]
	v_pack_b32_f16 v13, v40, v13
	v_pk_fma_f16 v38, 0x3770, v22, v38 op_sel:[0,0,1] op_sel_hi:[0,1,0]
	v_pk_add_f16 v2, v3, v2
	v_pk_fma_f16 v3, 0x3bf1, v37, v17 op_sel:[0,0,1] op_sel_hi:[0,1,0] neg_lo:[0,1,0] neg_hi:[0,1,0]
	v_pk_add_f16 v7, v7, v97
	v_pk_fma_f16 v40, 0xb9fd, v18, v20 op_sel:[0,0,1] op_sel_hi:[0,1,0]
	v_pk_fma_f16 v18, 0xb9fd, v18, v20 op_sel:[0,0,1] op_sel_hi:[0,1,0] neg_lo:[0,0,1] neg_hi:[0,0,1]
	v_pk_mul_f16 v20, 0x3bf1, v22 op_sel_hi:[0,1]
	v_pk_add_f16 v2, v3, v2
	v_pk_add_f16 v3, v38, v7
	v_pk_fma_f16 v6, 0xb94e, v23, v6 op_sel:[0,0,1] op_sel_hi:[0,1,0]
	v_bfi_b32 v7, 0xffff, v40, v18
	v_pk_fma_f16 v22, 0x2fb7, v21, v20 op_sel:[0,0,1] op_sel_hi:[0,1,0]
	v_pk_fma_f16 v20, 0x2fb7, v21, v20 op_sel:[0,0,1] op_sel_hi:[0,1,0] neg_lo:[0,0,1] neg_hi:[0,0,1]
	v_pk_mul_f16 v21, 0xba95, v23 op_sel_hi:[0,1]
	v_pk_add_f16 v3, v6, v3
	v_pk_fma_f16 v5, 0x3a95, v29, v5 op_sel:[0,0,1] op_sel_hi:[0,1,0]
	v_pk_add_f16 v6, v7, v97 op_sel:[0,1] op_sel_hi:[1,0]
	v_bfi_b32 v7, 0xffff, v22, v20
	v_pk_fma_f16 v23, 0x388b, v25, v21 op_sel:[0,0,1] op_sel_hi:[0,1,0]
	v_pk_fma_f16 v21, 0x388b, v25, v21 op_sel:[0,0,1] op_sel_hi:[0,1,0] neg_lo:[0,0,1] neg_hi:[0,0,1]
	v_pk_mul_f16 v25, 0x33a8, v29 op_sel_hi:[0,1]
	v_pk_add_f16 v3, v5, v3
	v_alignbit_b32 v5, s0, v40, 16
	v_pk_add_f16 v6, v7, v6
	v_bfi_b32 v7, 0xffff, v23, v21
	v_pk_fma_f16 v29, 0xbbc4, v24, v25 op_sel:[0,0,1] op_sel_hi:[0,1,0]
	v_pk_fma_f16 v24, 0xbbc4, v24, v25 op_sel:[0,0,1] op_sel_hi:[0,1,0] neg_lo:[0,0,1] neg_hi:[0,0,1]
	v_alignbit_b32 v25, s0, v97, 16
	v_pk_add_f16 v5, v5, v97
	v_alignbit_b32 v22, s0, v22, 16
	v_pk_fma_f16 v16, 0xbb7b, v26, v16 op_sel:[0,0,1] op_sel_hi:[0,1,0]
	v_pk_add_f16 v6, v7, v6
	v_bfi_b32 v7, 0xffff, v29, v24
	v_pk_add_f16 v18, v18, v25
	v_pk_add_f16 v5, v22, v5
	v_alignbit_b32 v22, s0, v23, 16
	v_pk_add_f16 v3, v16, v3
	v_pk_mul_f16 v16, 0x3770, v26 op_sel_hi:[0,1]
	v_pk_add_f16 v6, v7, v6
	v_pk_add_f16 v7, v20, v18
	;; [unrolled: 1-line block ×3, first 2 shown]
	v_alignbit_b32 v18, s0, v29, 16
	v_pk_fma_f16 v20, 0x3b15, v31, v16 op_sel:[0,0,1] op_sel_hi:[0,1,0]
	v_pk_mul_f16 v22, 0xbb7b, v37 op_sel_hi:[0,1]
	v_pk_add_f16 v7, v21, v7
	v_mul_f16_e32 v91, 0x388b, v39
	v_pk_fma_f16 v16, 0x3b15, v31, v16 op_sel:[0,0,1] op_sel_hi:[0,1,0] neg_lo:[0,0,1] neg_hi:[0,0,1]
	v_pk_add_f16 v5, v18, v5
	v_alignbit_b32 v18, s0, v20, 16
	v_pk_fma_f16 v21, 0xb5ac, v39, v22 op_sel:[0,0,1] op_sel_hi:[0,1,0]
	v_pk_add_f16 v7, v24, v7
	v_sub_f16_e32 v64, v91, v64
	v_and_b32_e32 v14, 0xffff, v32
	v_pk_fma_f16 v22, 0xb5ac, v39, v22 op_sel:[0,0,1] op_sel_hi:[0,1,0] neg_lo:[0,0,1] neg_hi:[0,0,1]
	v_pk_add_f16 v5, v18, v5
	v_alignbit_b32 v18, s0, v21, 16
	v_pk_add_f16 v7, v16, v7
	v_add_f16_e32 v49, v64, v50
	v_bfi_b32 v20, 0xffff, v20, v16
	v_pk_fma_f16 v16, 0x3bf1, v37, v17 op_sel:[0,0,1] op_sel_hi:[0,1,0]
	v_add_lshl_u32 v14, v19, v14, 2
	v_alignbit_b32 v15, v15, v1, 16
	v_pack_b32_f16 v1, v4, v1
	v_pk_add_f16 v5, v18, v5
	v_pk_add_f16 v7, v22, v7
	v_pack_b32_f16 v4, v49, v54
	v_pk_add_f16 v3, v16, v3
	v_pk_add_f16 v6, v20, v6
	v_bfi_b32 v17, 0xffff, v21, v22
	ds_write2_b32 v14, v1, v15 offset0:1 offset1:2
	ds_write2_b32 v14, v13, v4 offset0:3 offset1:4
	v_pack_b32_f16 v4, v7, v5
	v_alignbit_b32 v5, v2, v3, 16
	v_alignbit_b32 v2, v3, v2, 16
	v_pk_add_f16 v1, v17, v6
	v_perm_b32 v3, v36, v9, 0x5040100
	v_perm_b32 v6, v34, v11, 0x5040100
	;; [unrolled: 1-line block ×4, first 2 shown]
	ds_write2_b32 v14, v0, v4 offset1:5
	ds_write2_b32 v14, v2, v5 offset0:6 offset1:7
	ds_write2_b32 v14, v1, v3 offset0:8 offset1:9
	;; [unrolled: 1-line block ×3, first 2 shown]
	ds_write_b32 v14, v13 offset:48
.LBB0_7:
	s_or_b32 exec_lo, exec_lo, s2
	v_and_b32_e32 v0, 0xff, v28
	v_add_nc_u16 v1, v28, 39
	v_add_nc_u16 v2, v28, 0x4e
	v_mov_b32_e32 v5, 3
	s_load_dwordx4 s[0:3], s[0:1], 0x0
	v_mul_lo_u16 v0, 0x4f, v0
	v_and_b32_e32 v3, 0xff, v1
	s_waitcnt lgkmcnt(0)
	s_barrier
	buffer_gl0_inv
	v_lshrrev_b16 v20, 10, v0
	v_and_b32_e32 v0, 0xff, v2
	v_mul_lo_u16 v3, 0x4f, v3
	v_add_lshl_u32 v37, v19, v28, 2
	v_mov_b32_e32 v31, 39
	v_mul_lo_u16 v4, v20, 13
	v_mul_lo_u16 v0, 0x4f, v0
	v_lshrrev_b16 v21, 10, v3
	v_add_nc_u32_e32 v26, 0x200, v37
	v_mul_u32_u24_sdwa v20, v20, v31 dst_sel:DWORD dst_unused:UNUSED_PAD src0_sel:WORD_0 src1_sel:DWORD
	v_sub_nc_u16 v22, v28, v4
	v_lshrrev_b16 v23, 10, v0
	v_mul_lo_u16 v0, v21, 13
	v_mul_u32_u24_sdwa v21, v21, v31 dst_sel:DWORD dst_unused:UNUSED_PAD src0_sel:WORD_0 src1_sel:DWORD
	v_lshlrev_b32_e32 v41, 5, v28
	v_lshlrev_b32_sdwa v3, v5, v22 dst_sel:DWORD dst_unused:UNUSED_PAD src0_sel:DWORD src1_sel:BYTE_0
	v_mul_lo_u16 v4, v23, 13
	v_sub_nc_u16 v24, v1, v0
	v_add_nc_u32_sdwa v20, v20, v22 dst_sel:DWORD dst_unused:UNUSED_PAD src0_sel:DWORD src1_sel:BYTE_0
	v_mul_u32_u24_sdwa v23, v23, v31 dst_sel:DWORD dst_unused:UNUSED_PAD src0_sel:WORD_0 src1_sel:DWORD
	global_load_dwordx2 v[17:18], v3, s[4:5]
	v_sub_nc_u16 v25, v2, v4
	v_lshlrev_b32_sdwa v0, v5, v24 dst_sel:DWORD dst_unused:UNUSED_PAD src0_sel:DWORD src1_sel:BYTE_0
	v_add_lshl_u32 v38, v19, v20, 2
	v_add_nc_u32_sdwa v20, v21, v24 dst_sel:DWORD dst_unused:UNUSED_PAD src0_sel:DWORD src1_sel:BYTE_0
	v_lshlrev_b32_sdwa v1, v5, v25 dst_sel:DWORD dst_unused:UNUSED_PAD src0_sel:DWORD src1_sel:BYTE_0
	v_add_nc_u32_sdwa v21, v23, v25 dst_sel:DWORD dst_unused:UNUSED_PAD src0_sel:DWORD src1_sel:BYTE_0
	s_clause 0x1
	global_load_dwordx2 v[13:14], v0, s[4:5]
	global_load_dwordx2 v[15:16], v1, s[4:5]
	ds_read2_b32 v[0:1], v37 offset1:39
	ds_read2_b32 v[2:3], v37 offset0:78 offset1:117
	ds_read2_b32 v[4:5], v37 offset0:156 offset1:195
	ds_read_b32 v29, v37 offset:1248
	ds_read2_b32 v[6:7], v26 offset0:106 offset1:145
	v_add_lshl_u32 v39, v19, v20, 2
	v_add_lshl_u32 v40, v19, v21, 2
	s_waitcnt vmcnt(0) lgkmcnt(0)
	s_barrier
	buffer_gl0_inv
	v_lshrrev_b32_e32 v44, 16, v4
	v_lshrrev_b32_e32 v42, 16, v3
	;; [unrolled: 1-line block ×9, first 2 shown]
	v_mul_f16_sdwa v20, v42, v17 dst_sel:DWORD dst_unused:UNUSED_PAD src0_sel:DWORD src1_sel:WORD_1
	v_mul_f16_sdwa v23, v3, v17 dst_sel:DWORD dst_unused:UNUSED_PAD src0_sel:DWORD src1_sel:WORD_1
	;; [unrolled: 1-line block ×4, first 2 shown]
	v_fma_f16 v3, v3, v17, -v20
	v_fmac_f16_e32 v23, v42, v17
	v_fma_f16 v6, v6, v18, -v24
	v_fmac_f16_e32 v25, v47, v18
	v_mul_f16_sdwa v19, v44, v13 dst_sel:DWORD dst_unused:UNUSED_PAD src0_sel:DWORD src1_sel:WORD_1
	v_mul_f16_sdwa v20, v4, v13 dst_sel:DWORD dst_unused:UNUSED_PAD src0_sel:DWORD src1_sel:WORD_1
	v_mul_f16_sdwa v21, v48, v14 dst_sel:DWORD dst_unused:UNUSED_PAD src0_sel:DWORD src1_sel:WORD_1
	v_mul_f16_sdwa v24, v7, v14 dst_sel:DWORD dst_unused:UNUSED_PAD src0_sel:DWORD src1_sel:WORD_1
	v_mul_f16_sdwa v42, v22, v15 dst_sel:DWORD dst_unused:UNUSED_PAD src0_sel:DWORD src1_sel:WORD_1
	v_mul_f16_sdwa v47, v5, v15 dst_sel:DWORD dst_unused:UNUSED_PAD src0_sel:DWORD src1_sel:WORD_1
	v_mul_f16_sdwa v49, v46, v16 dst_sel:DWORD dst_unused:UNUSED_PAD src0_sel:DWORD src1_sel:WORD_1
	v_mul_f16_sdwa v50, v29, v16 dst_sel:DWORD dst_unused:UNUSED_PAD src0_sel:DWORD src1_sel:WORD_1
	v_fma_f16 v4, v4, v13, -v19
	v_fmac_f16_e32 v20, v44, v13
	v_fma_f16 v7, v7, v14, -v21
	v_fmac_f16_e32 v24, v48, v14
	;; [unrolled: 2-line block ×3, first 2 shown]
	v_fma_f16 v19, v29, v16, -v49
	v_add_f16_e32 v21, v0, v3
	v_add_f16_e32 v22, v3, v6
	v_sub_f16_e32 v29, v23, v25
	v_add_f16_e32 v42, v31, v23
	v_add_f16_e32 v23, v23, v25
	v_fmac_f16_e32 v50, v46, v16
	v_sub_f16_e32 v3, v3, v6
	v_add_f16_e32 v6, v21, v6
	v_fma_f16 v0, -0.5, v22, v0
	v_add_f16_e32 v21, v42, v25
	v_fmac_f16_e32 v31, -0.5, v23
	v_add_f16_e32 v23, v4, v7
	v_sub_f16_e32 v25, v20, v24
	v_add_f16_e32 v42, v43, v20
	v_add_f16_e32 v20, v20, v24
	;; [unrolled: 1-line block ×3, first 2 shown]
	v_sub_f16_e32 v48, v47, v50
	v_add_f16_e32 v49, v45, v47
	v_add_f16_e32 v47, v47, v50
	;; [unrolled: 1-line block ×3, first 2 shown]
	v_sub_f16_e32 v4, v4, v7
	v_fmamk_f16 v51, v29, 0x3aee, v0
	v_fmac_f16_e32 v0, 0xbaee, v29
	v_fmamk_f16 v29, v3, 0xbaee, v31
	v_fmac_f16_e32 v1, -0.5, v23
	v_fmac_f16_e32 v43, -0.5, v20
	v_add_f16_e32 v44, v2, v5
	v_sub_f16_e32 v5, v5, v19
	v_fmac_f16_e32 v2, -0.5, v46
	v_fmac_f16_e32 v45, -0.5, v47
	v_fmac_f16_e32 v31, 0x3aee, v3
	v_add_f16_e32 v3, v22, v7
	v_add_f16_e32 v7, v42, v24
	v_pack_b32_f16 v6, v6, v21
	v_fmamk_f16 v21, v25, 0x3aee, v1
	v_fmamk_f16 v22, v4, 0xbaee, v43
	v_pack_b32_f16 v24, v51, v29
	v_fmac_f16_e32 v1, 0xbaee, v25
	v_fmac_f16_e32 v43, 0x3aee, v4
	v_add_f16_e32 v19, v44, v19
	v_add_f16_e32 v20, v49, v50
	v_fmamk_f16 v4, v48, 0x3aee, v2
	v_fmamk_f16 v23, v5, 0xbaee, v45
	v_fmac_f16_e32 v2, 0xbaee, v48
	v_fmac_f16_e32 v45, 0x3aee, v5
	v_pack_b32_f16 v0, v0, v31
	v_pack_b32_f16 v3, v3, v7
	ds_write2_b32 v38, v6, v24 offset1:13
	v_pack_b32_f16 v6, v21, v22
	v_pack_b32_f16 v1, v1, v43
	;; [unrolled: 1-line block ×5, first 2 shown]
	ds_write_b32 v38, v0 offset:104
	ds_write2_b32 v39, v3, v6 offset1:13
	ds_write_b32 v39, v1 offset:104
	ds_write2_b32 v40, v5, v4 offset1:13
	ds_write_b32 v40, v2 offset:104
	s_waitcnt lgkmcnt(0)
	s_barrier
	buffer_gl0_inv
	s_clause 0x1
	global_load_dwordx4 v[4:7], v41, s[4:5] offset:104
	global_load_dwordx4 v[0:3], v41, s[4:5] offset:120
	ds_read2_b32 v[20:21], v37 offset1:39
	ds_read2_b32 v[22:23], v37 offset0:78 offset1:117
	ds_read2_b32 v[24:25], v37 offset0:156 offset1:195
	;; [unrolled: 1-line block ×3, first 2 shown]
	ds_read_b32 v19, v37 offset:1248
	v_lshl_add_u32 v29, v28, 2, v30
	v_lshl_add_u32 v31, v28, 2, v30
	v_add_nc_u32_e32 v51, 0x400, v29
	s_waitcnt lgkmcnt(4)
	v_lshrrev_b32_e32 v26, 16, v21
	s_waitcnt lgkmcnt(3)
	v_lshrrev_b32_e32 v43, 16, v22
	;; [unrolled: 2-line block ×3, first 2 shown]
	v_lshrrev_b32_e32 v46, 16, v25
	s_waitcnt lgkmcnt(1)
	v_lshrrev_b32_e32 v47, 16, v41
	v_lshrrev_b32_e32 v48, 16, v42
	s_waitcnt lgkmcnt(0)
	v_lshrrev_b32_e32 v50, 16, v19
	v_lshrrev_b32_e32 v44, 16, v23
	;; [unrolled: 1-line block ×3, first 2 shown]
	s_waitcnt vmcnt(1)
	v_mul_f16_sdwa v52, v26, v4 dst_sel:DWORD dst_unused:UNUSED_PAD src0_sel:DWORD src1_sel:WORD_1
	v_mul_f16_sdwa v53, v21, v4 dst_sel:DWORD dst_unused:UNUSED_PAD src0_sel:DWORD src1_sel:WORD_1
	;; [unrolled: 1-line block ×5, first 2 shown]
	s_waitcnt vmcnt(0)
	v_mul_f16_sdwa v60, v46, v0 dst_sel:DWORD dst_unused:UNUSED_PAD src0_sel:DWORD src1_sel:WORD_1
	v_mul_f16_sdwa v62, v47, v1 dst_sel:DWORD dst_unused:UNUSED_PAD src0_sel:DWORD src1_sel:WORD_1
	;; [unrolled: 1-line block ×11, first 2 shown]
	v_fma_f16 v21, v21, v4, -v52
	v_fmac_f16_e32 v53, v26, v4
	v_fma_f16 v22, v22, v5, -v54
	v_fmac_f16_e32 v55, v43, v5
	v_fma_f16 v24, v24, v7, -v58
	v_fma_f16 v25, v25, v0, -v60
	;; [unrolled: 1-line block ×4, first 2 shown]
	v_fmac_f16_e32 v67, v50, v3
	v_fma_f16 v41, v42, v2, -v64
	v_fmac_f16_e32 v65, v48, v2
	v_fma_f16 v23, v23, v6, -v56
	v_fmac_f16_e32 v57, v44, v6
	v_fmac_f16_e32 v59, v45, v7
	;; [unrolled: 1-line block ×4, first 2 shown]
	v_add_f16_e32 v44, v21, v19
	v_add_f16_e32 v46, v53, v67
	;; [unrolled: 1-line block ×4, first 2 shown]
	v_sub_f16_e32 v21, v21, v19
	v_sub_f16_e32 v42, v24, v25
	v_add_f16_e32 v50, v23, v26
	v_add_f16_e32 v52, v57, v63
	v_sub_f16_e32 v48, v53, v67
	v_sub_f16_e32 v22, v22, v41
	;; [unrolled: 1-line block ×4, first 2 shown]
	v_add_f16_e32 v54, v24, v25
	v_add_f16_e32 v55, v59, v61
	v_mul_f16_e32 v56, 0x3924, v21
	v_mul_f16_e32 v62, 0xb924, v42
	v_add_f16_e32 v68, v45, v44
	v_add_f16_e32 v69, v47, v46
	v_mul_f16_e32 v70, 0x3be1, v42
	v_sub_f16_e32 v23, v23, v26
	v_sub_f16_e32 v26, v57, v63
	v_mul_f16_e32 v63, 0xb924, v53
	v_fmac_f16_e32 v56, 0x3be1, v22
	v_fmac_f16_e32 v62, 0x3be1, v21
	v_add_f16_e32 v72, v54, v68
	v_add_f16_e32 v73, v55, v69
	v_fma_f16 v70, v22, 0xb924, -v70
	v_add_f16_e32 v68, v50, v68
	v_add_f16_e32 v69, v52, v69
	;; [unrolled: 1-line block ×3, first 2 shown]
	v_fmac_f16_e32 v63, 0x3be1, v48
	v_fmac_f16_e32 v56, 0x3aee, v23
	;; [unrolled: 1-line block ×4, first 2 shown]
	v_add_f16_e32 v23, v24, v68
	v_add_f16_e32 v24, v59, v69
	v_mul_f16_e32 v57, 0x3924, v48
	v_add_f16_e32 v67, v53, v48
	v_mul_f16_e32 v71, 0x3be1, v53
	v_sub_f16_e32 v66, v66, v22
	v_fmac_f16_e32 v63, 0xbaee, v26
	v_fmac_f16_e32 v62, 0x3579, v22
	v_add_f16_e32 v22, v25, v23
	v_add_f16_e32 v23, v61, v24
	v_fmamk_f16 v58, v44, 0x3a21, v20
	v_fmamk_f16 v60, v46, 0x3a21, v49
	;; [unrolled: 1-line block ×4, first 2 shown]
	v_add_f16_e32 v19, v50, v20
	v_add_f16_e32 v43, v52, v49
	v_fmac_f16_e32 v57, 0x3be1, v41
	v_sub_f16_e32 v67, v67, v41
	v_fma_f16 v71, v41, 0xb924, -v71
	v_fmac_f16_e32 v56, 0x3579, v42
	v_fmac_f16_e32 v63, 0x3579, v41
	v_add_f16_e32 v41, v22, v20
	v_add_f16_e32 v42, v23, v49
	v_fmac_f16_e32 v20, 0x3a21, v45
	v_fmac_f16_e32 v49, 0x3a21, v47
	;; [unrolled: 1-line block ×9, first 2 shown]
	v_fmac_f16_e32 v58, -0.5, v50
	v_fmac_f16_e32 v60, -0.5, v52
	;; [unrolled: 1-line block ×4, first 2 shown]
	v_fmac_f16_e32 v71, 0x3aee, v26
	v_fmac_f16_e32 v20, -0.5, v50
	v_fmac_f16_e32 v49, -0.5, v52
	v_fmac_f16_e32 v57, 0x3579, v53
	v_fmac_f16_e32 v58, 0xbb84, v54
	;; [unrolled: 1-line block ×5, first 2 shown]
	v_fmac_f16_e32 v19, -0.5, v72
	v_fmac_f16_e32 v43, -0.5, v73
	v_fmac_f16_e32 v70, 0x3579, v21
	v_fmac_f16_e32 v71, 0x3579, v48
	;; [unrolled: 1-line block ×4, first 2 shown]
	v_add_f16_e32 v21, v57, v58
	v_sub_f16_e32 v48, v60, v56
	v_add_f16_e32 v22, v63, v64
	v_sub_f16_e32 v47, v65, v62
	v_mul_f16_e32 v74, 0x3aee, v66
	v_mul_f16_e32 v75, 0x3aee, v67
	v_fmac_f16_e32 v19, 0x3aee, v67
	v_fmac_f16_e32 v43, 0xbaee, v66
	v_add_f16_e32 v20, v71, v20
	v_sub_f16_e32 v49, v49, v70
	v_fma_f16 v26, -2.0, v57, v21
	v_fma_f16 v44, 2.0, v56, v48
	v_fma_f16 v25, -2.0, v63, v22
	v_fma_f16 v46, 2.0, v62, v47
	;; [unrolled: 2-line block ×4, first 2 shown]
	v_pack_b32_f16 v53, v41, v42
	v_pack_b32_f16 v54, v21, v48
	;; [unrolled: 1-line block ×9, first 2 shown]
	ds_write_b32 v31, v53
	ds_write2_b32 v29, v54, v55 offset0:39 offset1:78
	ds_write2_b32 v51, v57, v58 offset0:17 offset1:56
	;; [unrolled: 1-line block ×4, first 2 shown]
	s_waitcnt lgkmcnt(0)
	s_barrier
	buffer_gl0_inv
	s_and_saveexec_b32 s8, vcc_lo
	s_cbranch_execz .LBB0_9
; %bb.8:
	global_load_dword v52, v27, s[20:21] offset:1404
	s_add_u32 s4, s20, 0x57c
	s_addc_u32 s5, s21, 0
	s_clause 0xb
	global_load_dword v64, v27, s[4:5] offset:108
	global_load_dword v65, v27, s[4:5] offset:216
	global_load_dword v66, v27, s[4:5] offset:324
	global_load_dword v67, v27, s[4:5] offset:432
	global_load_dword v68, v27, s[4:5] offset:540
	global_load_dword v69, v27, s[4:5] offset:648
	global_load_dword v70, v27, s[4:5] offset:756
	global_load_dword v71, v27, s[4:5] offset:864
	global_load_dword v72, v27, s[4:5] offset:972
	global_load_dword v73, v27, s[4:5] offset:1080
	global_load_dword v74, v27, s[4:5] offset:1188
	global_load_dword v75, v27, s[4:5] offset:1296
	ds_read_b32 v53, v31
	v_add_nc_u32_e32 v76, 0x200, v29
	s_waitcnt lgkmcnt(0)
	v_lshrrev_b32_e32 v54, 16, v53
	s_waitcnt vmcnt(12)
	v_mul_f16_sdwa v55, v54, v52 dst_sel:DWORD dst_unused:UNUSED_PAD src0_sel:DWORD src1_sel:WORD_1
	v_mul_f16_sdwa v56, v53, v52 dst_sel:DWORD dst_unused:UNUSED_PAD src0_sel:DWORD src1_sel:WORD_1
	v_fma_f16 v53, v53, v52, -v55
	v_fmac_f16_e32 v56, v54, v52
	v_pack_b32_f16 v52, v53, v56
	ds_write_b32 v31, v52
	ds_read2_b32 v[52:53], v29 offset0:27 offset1:54
	ds_read2_b32 v[54:55], v29 offset0:81 offset1:108
	;; [unrolled: 1-line block ×6, first 2 shown]
	s_waitcnt lgkmcnt(5)
	v_lshrrev_b32_e32 v77, 16, v52
	s_waitcnt vmcnt(11)
	v_mul_f16_sdwa v78, v52, v64 dst_sel:DWORD dst_unused:UNUSED_PAD src0_sel:DWORD src1_sel:WORD_1
	v_lshrrev_b32_e32 v79, 16, v53
	s_waitcnt vmcnt(10)
	v_mul_f16_sdwa v80, v53, v65 dst_sel:DWORD dst_unused:UNUSED_PAD src0_sel:DWORD src1_sel:WORD_1
	s_waitcnt lgkmcnt(4)
	v_lshrrev_b32_e32 v81, 16, v54
	s_waitcnt vmcnt(9)
	v_mul_f16_sdwa v82, v54, v66 dst_sel:DWORD dst_unused:UNUSED_PAD src0_sel:DWORD src1_sel:WORD_1
	v_lshrrev_b32_e32 v83, 16, v55
	s_waitcnt vmcnt(8)
	v_mul_f16_sdwa v84, v55, v67 dst_sel:DWORD dst_unused:UNUSED_PAD src0_sel:DWORD src1_sel:WORD_1
	;; [unrolled: 7-line block ×5, first 2 shown]
	s_waitcnt lgkmcnt(0)
	v_lshrrev_b32_e32 v97, 16, v62
	s_waitcnt vmcnt(1)
	v_mul_f16_sdwa v98, v62, v74 dst_sel:DWORD dst_unused:UNUSED_PAD src0_sel:DWORD src1_sel:WORD_1
	v_lshrrev_b32_e32 v99, 16, v63
	v_mul_f16_sdwa v101, v77, v64 dst_sel:DWORD dst_unused:UNUSED_PAD src0_sel:DWORD src1_sel:WORD_1
	v_fmac_f16_e32 v78, v77, v64
	v_mul_f16_sdwa v77, v79, v65 dst_sel:DWORD dst_unused:UNUSED_PAD src0_sel:DWORD src1_sel:WORD_1
	v_fmac_f16_e32 v80, v79, v65
	;; [unrolled: 2-line block ×9, first 2 shown]
	v_mul_f16_sdwa v93, v95, v73 dst_sel:DWORD dst_unused:UNUSED_PAD src0_sel:DWORD src1_sel:WORD_1
	s_waitcnt vmcnt(0)
	v_mul_f16_sdwa v100, v63, v75 dst_sel:DWORD dst_unused:UNUSED_PAD src0_sel:DWORD src1_sel:WORD_1
	v_fmac_f16_e32 v96, v95, v73
	v_mul_f16_sdwa v95, v97, v74 dst_sel:DWORD dst_unused:UNUSED_PAD src0_sel:DWORD src1_sel:WORD_1
	v_fmac_f16_e32 v98, v97, v74
	v_mul_f16_sdwa v97, v99, v75 dst_sel:DWORD dst_unused:UNUSED_PAD src0_sel:DWORD src1_sel:WORD_1
	v_fma_f16 v52, v52, v64, -v101
	v_fma_f16 v53, v53, v65, -v77
	;; [unrolled: 1-line block ×10, first 2 shown]
	v_fmac_f16_e32 v100, v99, v75
	v_fma_f16 v62, v62, v74, -v95
	v_fma_f16 v63, v63, v75, -v97
	v_pack_b32_f16 v52, v52, v78
	v_pack_b32_f16 v53, v53, v80
	;; [unrolled: 1-line block ×12, first 2 shown]
	ds_write2_b32 v29, v52, v53 offset0:27 offset1:54
	ds_write2_b32 v29, v54, v55 offset0:81 offset1:108
	;; [unrolled: 1-line block ×6, first 2 shown]
.LBB0_9:
	s_or_b32 exec_lo, exec_lo, s8
	s_waitcnt lgkmcnt(0)
	s_barrier
	buffer_gl0_inv
	s_and_saveexec_b32 s4, vcc_lo
	s_cbranch_execz .LBB0_11
; %bb.10:
	v_add_nc_u32_e32 v9, 0x200, v31
	v_add_nc_u32_e32 v11, 0x400, v31
	ds_read_b32 v41, v31
	ds_read2_b32 v[21:22], v31 offset0:27 offset1:54
	ds_read2_b32 v[19:20], v31 offset0:81 offset1:108
	;; [unrolled: 1-line block ×6, first 2 shown]
	s_waitcnt lgkmcnt(6)
	v_lshrrev_b32_e32 v42, 16, v41
	s_waitcnt lgkmcnt(5)
	v_lshrrev_b32_e32 v48, 16, v21
	v_lshrrev_b32_e32 v47, 16, v22
	s_waitcnt lgkmcnt(4)
	v_lshrrev_b32_e32 v43, 16, v19
	;; [unrolled: 3-line block ×6, first 2 shown]
	v_lshrrev_b32_e32 v33, 16, v12
.LBB0_11:
	s_or_b32 exec_lo, exec_lo, s4
	s_barrier
	buffer_gl0_inv
	s_and_saveexec_b32 s4, vcc_lo
	s_cbranch_execz .LBB0_13
; %bb.12:
	v_sub_f16_e32 v55, v21, v12
	v_add_f16_e32 v68, v33, v48
	v_sub_f16_e32 v53, v22, v11
	v_add_f16_e32 v69, v34, v47
	v_sub_f16_e32 v51, v19, v10
	v_mul_f16_e32 v67, 0xb94e, v55
	v_add_f16_e32 v70, v35, v43
	v_mul_f16_e32 v72, 0x3bf1, v53
	v_sub_f16_e32 v52, v20, v9
	v_mul_f16_e32 v74, 0xba95, v51
	v_fmamk_f16 v56, v68, 0xb9fd, v67
	v_add_f16_e32 v71, v36, v49
	v_fmamk_f16 v57, v69, 0x2fb7, v72
	v_sub_f16_e32 v54, v23, v26
	v_sub_f16_e32 v75, v48, v33
	v_add_f16_e32 v56, v42, v56
	v_mul_f16_e32 v76, 0x33a8, v52
	v_fmamk_f16 v59, v70, 0x388b, v74
	v_add_f16_e32 v73, v44, v50
	v_add_f16_e32 v58, v12, v21
	;; [unrolled: 1-line block ×3, first 2 shown]
	v_sub_f16_e32 v77, v47, v34
	v_mul_f16_e32 v78, 0x3770, v54
	v_mul_f16_e32 v79, 0xb94e, v75
	v_fmamk_f16 v57, v71, 0xbbc4, v76
	v_add_f16_e32 v56, v59, v56
	v_add_f16_e32 v59, v11, v22
	v_mul_f16_e32 v80, 0x3bf1, v77
	v_fmamk_f16 v60, v73, 0x3b15, v78
	v_fma_f16 v61, v58, 0xb9fd, -v79
	v_add_f16_e32 v57, v57, v56
	v_sub_f16_e32 v81, v43, v35
	v_sub_f16_e32 v56, v24, v25
	v_fma_f16 v62, v59, 0x2fb7, -v80
	v_add_f16_e32 v61, v41, v61
	v_add_f16_e32 v57, v60, v57
	;; [unrolled: 1-line block ×3, first 2 shown]
	v_mul_f16_e32 v82, 0xba95, v81
	v_sub_f16_e32 v84, v49, v36
	v_mul_f16_e32 v83, 0xbb7b, v56
	v_add_f16_e32 v85, v46, v45
	v_add_f16_e32 v62, v62, v61
	v_fma_f16 v63, v60, 0x388b, -v82
	v_add_f16_e32 v61, v9, v20
	v_mul_f16_e32 v86, 0x33a8, v84
	v_sub_f16_e32 v87, v50, v44
	v_fmamk_f16 v64, v85, 0xb5ac, v83
	v_add_f16_e32 v62, v63, v62
	v_mul_f16_e32 v66, 0xb3a8, v55
	v_fma_f16 v65, v61, 0xbbc4, -v86
	v_add_f16_e32 v63, v26, v23
	v_mul_f16_e32 v88, 0x3770, v87
	v_sub_f16_e32 v89, v45, v46
	v_add_f16_e32 v57, v64, v57
	v_add_f16_e32 v64, v65, v62
	v_fmamk_f16 v65, v68, 0xbbc4, v66
	v_mul_f16_e32 v90, 0x3770, v53
	v_fma_f16 v91, v63, 0x3b15, -v88
	v_add_f16_e32 v62, v25, v24
	v_mul_f16_e32 v92, 0xbb7b, v89
	v_add_f16_e32 v65, v42, v65
	v_fmamk_f16 v93, v69, 0x3b15, v90
	v_mul_f16_e32 v94, 0xb94e, v51
	v_add_f16_e32 v64, v91, v64
	v_fma_f16 v91, v62, 0xb5ac, -v92
	v_mul_f16_e32 v95, 0xb3a8, v75
	v_add_f16_e32 v65, v93, v65
	v_fmamk_f16 v93, v70, 0xb9fd, v94
	v_mul_f16_e32 v96, 0x3a95, v52
	v_add_f16_e32 v64, v91, v64
	v_fma_f16 v91, v58, 0xbbc4, -v95
	;; [unrolled: 6-line block ×4, first 2 shown]
	v_mul_f16_e32 v102, 0x3a95, v84
	v_fma_f16 v67, v68, 0xb9fd, -v67
	v_add_f16_e32 v65, v93, v65
	v_fmamk_f16 v93, v85, 0x2fb7, v101
	v_fma_f16 v66, v68, 0xbbc4, -v66
	v_add_f16_e32 v91, v99, v91
	v_fma_f16 v99, v61, 0x388b, -v102
	v_mul_f16_e32 v103, 0xbb7b, v87
	v_add_f16_e32 v67, v42, v67
	v_fma_f16 v72, v69, 0x2fb7, -v72
	v_add_f16_e32 v65, v93, v65
	v_add_f16_e32 v66, v42, v66
	v_fma_f16 v90, v69, 0x3b15, -v90
	v_add_f16_e32 v91, v99, v91
	v_fma_f16 v93, v63, 0xb5ac, -v103
	v_mul_f16_e32 v99, 0x3bf1, v89
	v_fmac_f16_e32 v95, 0xbbc4, v58
	v_add_f16_e32 v72, v72, v67
	v_fma_f16 v74, v70, 0x388b, -v74
	v_fmac_f16_e32 v79, 0xb9fd, v58
	v_add_f16_e32 v66, v90, v66
	v_fma_f16 v90, v70, 0xb9fd, -v94
	v_add_f16_e32 v91, v93, v91
	v_fma_f16 v93, v62, 0x2fb7, -v99
	v_add_f16_e32 v94, v41, v95
	v_fmac_f16_e32 v97, 0x3b15, v59
	v_add_f16_e32 v72, v74, v72
	v_fma_f16 v74, v71, 0xbbc4, -v76
	v_add_f16_e32 v79, v41, v79
	v_fmac_f16_e32 v80, 0x2fb7, v59
	v_add_f16_e32 v21, v21, v41
	v_add_f16_e32 v90, v90, v66
	v_fma_f16 v95, v71, 0x388b, -v96
	v_add_f16_e32 v66, v93, v91
	v_add_f16_e32 v91, v97, v94
	v_fmac_f16_e32 v100, 0xb9fd, v60
	v_add_f16_e32 v72, v74, v72
	v_fma_f16 v78, v73, 0x3b15, -v78
	v_add_f16_e32 v79, v80, v79
	v_fmac_f16_e32 v82, 0x388b, v60
	v_add_f16_e32 v21, v22, v21
	v_add_f16_e32 v22, v48, v42
	;; [unrolled: 1-line block ×3, first 2 shown]
	v_fma_f16 v93, v73, 0xb5ac, -v98
	v_add_f16_e32 v91, v100, v91
	v_fmac_f16_e32 v102, 0x388b, v61
	v_add_f16_e32 v72, v78, v72
	v_add_f16_e32 v78, v82, v79
	v_fmac_f16_e32 v86, 0xbbc4, v61
	v_fma_f16 v83, v85, 0xb5ac, -v83
	v_add_f16_e32 v19, v19, v21
	v_add_f16_e32 v21, v47, v22
	;; [unrolled: 1-line block ×3, first 2 shown]
	v_fma_f16 v93, v85, 0x2fb7, -v101
	v_add_f16_e32 v91, v102, v91
	v_fmac_f16_e32 v103, 0xb5ac, v63
	v_mul_f16_e32 v74, 0xb5ac, v68
	v_add_f16_e32 v78, v86, v78
	v_fmac_f16_e32 v88, 0x3b15, v63
	v_add_f16_e32 v72, v83, v72
	v_mul_f16_e32 v83, 0xbb7b, v75
	v_add_f16_e32 v19, v20, v19
	v_add_f16_e32 v20, v43, v21
	;; [unrolled: 1-line block ×4, first 2 shown]
	v_fmamk_f16 v80, v55, 0x3b7b, v74
	v_mul_f16_e32 v90, 0xb9fd, v69
	v_add_f16_e32 v78, v88, v78
	v_fmac_f16_e32 v92, 0xb5ac, v62
	v_fmamk_f16 v91, v58, 0xb5ac, v83
	v_mul_f16_e32 v93, 0x394e, v77
	v_add_f16_e32 v19, v23, v19
	v_add_f16_e32 v20, v49, v20
	;; [unrolled: 1-line block ×3, first 2 shown]
	v_fmamk_f16 v80, v53, 0xb94e, v90
	v_mul_f16_e32 v82, 0x3b15, v70
	v_add_f16_e32 v78, v92, v78
	v_add_f16_e32 v91, v41, v91
	v_fmamk_f16 v92, v59, 0xb9fd, v93
	v_mul_f16_e32 v94, 0x3770, v81
	v_add_f16_e32 v19, v24, v19
	v_add_f16_e32 v20, v50, v20
	;; [unrolled: 1-line block ×3, first 2 shown]
	v_fmamk_f16 v80, v51, 0xb770, v82
	v_mul_f16_e32 v86, 0x2fb7, v71
	v_add_f16_e32 v91, v92, v91
	v_fmamk_f16 v92, v60, 0x3b15, v94
	v_mul_f16_e32 v96, 0xbbf1, v84
	v_add_f16_e32 v19, v25, v19
	v_add_f16_e32 v20, v45, v20
	;; [unrolled: 1-line block ×3, first 2 shown]
	v_fmamk_f16 v80, v52, 0x3bf1, v86
	v_mul_f16_e32 v88, 0xbbc4, v73
	v_add_f16_e32 v91, v92, v91
	v_fmamk_f16 v92, v61, 0x2fb7, v96
	v_mul_f16_e32 v100, 0x33a8, v87
	v_mul_f16_e32 v103, 0xbbf1, v75
	;; [unrolled: 1-line block ×4, first 2 shown]
	v_add_f16_e32 v19, v26, v19
	v_add_f16_e32 v20, v46, v20
	v_fmac_f16_e32 v99, 0x2fb7, v62
	v_add_f16_e32 v79, v80, v79
	v_fmamk_f16 v80, v54, 0xb3a8, v88
	v_mul_f16_e32 v95, 0x2fb7, v68
	v_add_f16_e32 v91, v92, v91
	v_fmamk_f16 v92, v63, 0xbbc4, v100
	v_mul_f16_e32 v107, 0xb3a8, v77
	v_mul_f16_e32 v121, 0xbb7b, v77
	v_fmamk_f16 v48, v58, 0x3b15, v75
	v_mul_f16_e32 v77, 0xba95, v77
	v_add_f16_e32 v9, v9, v19
	v_add_f16_e32 v19, v44, v20
	;; [unrolled: 1-line block ×4, first 2 shown]
	v_mul_f16_e32 v80, 0x388b, v85
	v_fmamk_f16 v98, v55, 0x3bf1, v95
	v_mul_f16_e32 v99, 0xbbc4, v69
	v_add_f16_e32 v91, v92, v91
	v_mul_f16_e32 v92, 0x3a95, v89
	v_add_f16_e32 v22, v41, v48
	v_fmamk_f16 v47, v59, 0x388b, v77
	v_mul_f16_e32 v48, 0xbbf1, v81
	v_add_f16_e32 v9, v10, v9
	v_add_f16_e32 v10, v36, v19
	v_fma_f16 v19, v58, 0xb5ac, -v83
	v_fmamk_f16 v97, v56, 0xba95, v80
	v_add_f16_e32 v98, v42, v98
	v_fmamk_f16 v101, v53, 0x33a8, v99
	v_mul_f16_e32 v102, 0xb5ac, v70
	v_fmamk_f16 v105, v62, 0x388b, v92
	v_fmamk_f16 v106, v58, 0x2fb7, v103
	v_add_f16_e32 v22, v47, v22
	v_fmamk_f16 v43, v60, 0x2fb7, v48
	v_mul_f16_e32 v23, 0xbb7b, v84
	v_add_f16_e32 v9, v11, v9
	v_add_f16_e32 v11, v41, v19
	v_fma_f16 v19, v59, 0xb9fd, -v93
	v_add_f16_e32 v79, v97, v79
	v_add_f16_e32 v97, v101, v98
	v_fmamk_f16 v98, v51, 0xbb7b, v102
	v_mul_f16_e32 v101, 0x3b15, v71
	v_add_f16_e32 v91, v105, v91
	v_add_f16_e32 v105, v41, v106
	v_fmamk_f16 v106, v59, 0xbbc4, v107
	v_mul_f16_e32 v108, 0x3b7b, v81
	v_add_f16_e32 v22, v43, v22
	v_fmamk_f16 v24, v61, 0xb5ac, v23
	v_mul_f16_e32 v43, 0xb94e, v87
	v_add_f16_e32 v9, v12, v9
	v_add_f16_e32 v11, v19, v11
	v_fma_f16 v12, v60, 0x3b15, -v94
	v_add_f16_e32 v97, v98, v97
	v_fmamk_f16 v98, v52, 0xb770, v101
	v_mul_f16_e32 v104, 0x388b, v73
	v_add_f16_e32 v105, v106, v105
	v_fmamk_f16 v106, v60, 0xb5ac, v108
	v_mul_f16_e32 v110, 0x3770, v84
	;; [unrolled: 3-line block ×3, first 2 shown]
	v_add_f16_e32 v11, v12, v11
	v_fma_f16 v12, v61, 0x2fb7, -v96
	v_add_f16_e32 v97, v98, v97
	v_fmamk_f16 v98, v54, 0x3a95, v104
	v_mul_f16_e32 v109, 0x388b, v68
	v_add_f16_e32 v105, v106, v105
	v_fmamk_f16 v106, v61, 0x3b15, v110
	v_mul_f16_e32 v114, 0xba95, v87
	v_add_f16_e32 v22, v24, v22
	v_fmamk_f16 v24, v62, 0xbbc4, v25
	v_add_f16_e32 v11, v12, v11
	v_fma_f16 v12, v58, 0x2fb7, -v103
	v_add_f16_e32 v97, v98, v97
	v_mul_f16_e32 v98, 0xb9fd, v85
	v_fmamk_f16 v112, v55, 0x3a95, v109
	v_mul_f16_e32 v113, 0xb5ac, v69
	v_add_f16_e32 v105, v106, v105
	v_fmamk_f16 v106, v63, 0x388b, v114
	v_add_f16_e32 v22, v24, v22
	v_add_f16_e32 v10, v35, v10
	v_fma_f16 v24, v63, 0xbbc4, -v100
	v_add_f16_e32 v12, v41, v12
	v_fma_f16 v26, v59, 0xbbc4, -v107
	v_fmamk_f16 v111, v56, 0x394e, v98
	v_add_f16_e32 v112, v42, v112
	v_fmamk_f16 v115, v53, 0x3b7b, v113
	v_mul_f16_e32 v116, 0xbbc4, v70
	v_add_f16_e32 v105, v106, v105
	v_mul_f16_e32 v106, 0xb94e, v89
	v_add_f16_e32 v10, v34, v10
	v_add_f16_e32 v11, v24, v11
	v_fmac_f16_e32 v109, 0xba95, v55
	v_add_f16_e32 v12, v26, v12
	v_fma_f16 v24, v60, 0xb5ac, -v108
	v_add_f16_e32 v97, v111, v97
	v_add_f16_e32 v111, v115, v112
	v_fmamk_f16 v112, v51, 0x33a8, v116
	v_mul_f16_e32 v115, 0xb9fd, v71
	v_fmamk_f16 v119, v62, 0xb9fd, v106
	v_fmamk_f16 v120, v58, 0x388b, v117
	v_fmac_f16_e32 v74, 0xbb7b, v55
	v_add_f16_e32 v10, v33, v10
	v_add_f16_e32 v33, v42, v109
	v_fmac_f16_e32 v113, 0xbb7b, v53
	v_add_f16_e32 v12, v24, v12
	v_fma_f16 v24, v61, 0x3b15, -v110
	v_add_f16_e32 v111, v112, v111
	v_fmamk_f16 v112, v52, 0xb94e, v115
	v_mul_f16_e32 v118, 0x2fb7, v73
	v_add_f16_e32 v105, v119, v105
	v_add_f16_e32 v119, v41, v120
	v_fmamk_f16 v120, v59, 0xb5ac, v121
	v_mul_f16_e32 v122, 0xb3a8, v81
	v_mul_f16_e32 v68, 0x3b15, v68
	v_add_f16_e32 v20, v42, v74
	v_fmac_f16_e32 v90, 0x394e, v53
	v_fma_f16 v26, v62, 0x388b, -v92
	v_add_f16_e32 v33, v113, v33
	v_fmac_f16_e32 v116, 0xb3a8, v51
	v_add_f16_e32 v12, v24, v12
	v_fma_f16 v24, v63, 0x388b, -v114
	v_add_f16_e32 v111, v112, v111
	v_fmamk_f16 v112, v54, 0xbbf1, v118
	v_add_f16_e32 v119, v120, v119
	v_fmamk_f16 v120, v60, 0xbbc4, v122
	v_mul_f16_e32 v123, 0x394e, v84
	v_fmamk_f16 v125, v55, 0x3770, v68
	v_mul_f16_e32 v69, 0x388b, v69
	v_add_f16_e32 v20, v90, v20
	v_fmac_f16_e32 v82, 0x3770, v51
	v_add_f16_e32 v11, v26, v11
	v_add_f16_e32 v26, v116, v33
	;; [unrolled: 1-line block ×3, first 2 shown]
	v_fma_f16 v24, v62, 0xb9fd, -v106
	v_fma_f16 v33, v58, 0x388b, -v117
	v_add_f16_e32 v111, v112, v111
	v_mul_f16_e32 v112, 0x3b15, v85
	v_add_f16_e32 v119, v120, v119
	v_fmamk_f16 v120, v61, 0xb9fd, v123
	v_mul_f16_e32 v126, 0x3bf1, v87
	v_add_f16_e32 v125, v42, v125
	v_fmamk_f16 v127, v53, 0x3a95, v69
	v_mul_f16_e32 v70, 0x2fb7, v70
	v_add_f16_e32 v20, v82, v20
	v_fmac_f16_e32 v86, 0xbbf1, v52
	v_fmac_f16_e32 v95, 0xbbf1, v55
	v_add_f16_e32 v12, v24, v12
	v_add_f16_e32 v24, v41, v33
	v_fma_f16 v33, v59, 0xb5ac, -v121
	v_fmac_f16_e32 v68, 0xb770, v55
	v_fma_f16 v34, v58, 0x3b15, -v75
	v_fmamk_f16 v124, v56, 0xb770, v112
	v_add_f16_e32 v119, v120, v119
	v_fmamk_f16 v120, v63, 0x2fb7, v126
	v_mul_f16_e32 v128, 0x3770, v89
	v_add_f16_e32 v125, v127, v125
	v_fmamk_f16 v127, v51, 0x3bf1, v70
	v_mul_f16_e32 v71, 0xb5ac, v71
	v_add_f16_e32 v19, v86, v20
	v_add_f16_e32 v20, v42, v95
	v_fmac_f16_e32 v99, 0xb3a8, v53
	v_add_f16_e32 v24, v33, v24
	v_fma_f16 v33, v60, 0xbbc4, -v122
	v_add_f16_e32 v35, v42, v68
	v_fmac_f16_e32 v69, 0xba95, v53
	v_add_f16_e32 v34, v41, v34
	v_fma_f16 v36, v59, 0x388b, -v77
	v_add_f16_e32 v111, v124, v111
	v_add_f16_e32 v119, v120, v119
	v_fmamk_f16 v120, v62, 0x3b15, v128
	v_add_f16_e32 v124, v127, v125
	v_fmamk_f16 v125, v52, 0x3b7b, v71
	v_mul_f16_e32 v73, 0xb9fd, v73
	v_add_f16_e32 v20, v99, v20
	v_fmac_f16_e32 v102, 0x3b7b, v51
	v_add_f16_e32 v24, v33, v24
	v_fma_f16 v33, v61, 0xb9fd, -v123
	v_add_f16_e32 v35, v69, v35
	v_fmac_f16_e32 v70, 0xbbf1, v51
	v_add_f16_e32 v34, v36, v34
	v_fma_f16 v36, v60, 0x2fb7, -v48
	v_add_f16_e32 v119, v120, v119
	v_add_f16_e32 v120, v125, v124
	v_fmamk_f16 v124, v54, 0x394e, v73
	v_mul_f16_e32 v21, 0xbbc4, v85
	v_add_f16_e32 v20, v102, v20
	v_fmac_f16_e32 v101, 0x3770, v52
	v_fmac_f16_e32 v115, 0x394e, v52
	v_add_f16_e32 v24, v33, v24
	v_fma_f16 v33, v63, 0x2fb7, -v126
	v_add_f16_e32 v35, v70, v35
	v_fmac_f16_e32 v71, 0xbb7b, v52
	v_add_f16_e32 v34, v36, v34
	v_fma_f16 v23, v61, 0xb5ac, -v23
	v_add_f16_e32 v120, v124, v120
	v_fmamk_f16 v47, v56, 0x33a8, v21
	v_fmac_f16_e32 v88, 0x33a8, v54
	v_add_f16_e32 v20, v101, v20
	v_fmac_f16_e32 v104, 0xba95, v54
	v_add_f16_e32 v26, v115, v26
	;; [unrolled: 2-line block ×3, first 2 shown]
	v_add_f16_e32 v33, v71, v35
	v_fmac_f16_e32 v73, 0xb94e, v54
	v_add_f16_e32 v23, v23, v34
	v_fma_f16 v34, v63, 0xb9fd, -v43
	v_add_f16_e32 v47, v47, v120
	v_and_b32_e32 v32, 0xffff, v32
	v_add_f16_e32 v19, v88, v19
	v_fmac_f16_e32 v80, 0x3a95, v56
	v_add_f16_e32 v20, v104, v20
	v_fmac_f16_e32 v98, 0xb94e, v56
	;; [unrolled: 2-line block ×3, first 2 shown]
	v_fma_f16 v35, v62, 0x3b15, -v128
	v_add_f16_e32 v33, v73, v33
	v_fmac_f16_e32 v21, 0xb3a8, v56
	v_add_f16_e32 v23, v34, v23
	v_fma_f16 v25, v62, 0xbbc4, -v25
	v_lshl_add_u32 v30, v32, 2, v30
	v_pack_b32_f16 v22, v22, v47
	v_pack_b32_f16 v9, v9, v10
	;; [unrolled: 1-line block ×4, first 2 shown]
	v_add_f16_e32 v19, v80, v19
	v_add_f16_e32 v20, v98, v20
	;; [unrolled: 1-line block ×6, first 2 shown]
	ds_write2_b32 v30, v9, v22 offset1:1
	ds_write2_b32 v30, v32, v10 offset0:2 offset1:3
	v_pack_b32_f16 v9, v78, v72
	v_pack_b32_f16 v10, v91, v79
	;; [unrolled: 1-line block ×9, first 2 shown]
	ds_write2_b32 v30, v10, v9 offset0:4 offset1:5
	ds_write2_b32 v30, v25, v22 offset0:6 offset1:7
	;; [unrolled: 1-line block ×4, first 2 shown]
	ds_write_b32 v30, v20 offset:48
.LBB0_13:
	s_or_b32 exec_lo, exec_lo, s4
	v_add_nc_u32_e32 v23, 0x200, v37
	s_waitcnt lgkmcnt(0)
	s_barrier
	buffer_gl0_inv
	ds_read2_b32 v[9:10], v37 offset1:39
	ds_read2_b32 v[11:12], v37 offset0:78 offset1:117
	ds_read2_b32 v[19:20], v37 offset0:156 offset1:195
	ds_read_b32 v24, v37 offset:1248
	ds_read2_b32 v[21:22], v23 offset0:106 offset1:145
	s_waitcnt lgkmcnt(0)
	s_barrier
	buffer_gl0_inv
	v_lshrrev_b32_e32 v25, 16, v9
	v_lshrrev_b32_e32 v26, 16, v12
	;; [unrolled: 1-line block ×4, first 2 shown]
	v_mul_f16_sdwa v36, v17, v12 dst_sel:DWORD dst_unused:UNUSED_PAD src0_sel:WORD_1 src1_sel:DWORD
	v_mul_f16_sdwa v42, v15, v20 dst_sel:DWORD dst_unused:UNUSED_PAD src0_sel:WORD_1 src1_sel:DWORD
	v_lshrrev_b32_e32 v44, 16, v21
	v_mul_f16_sdwa v41, v13, v19 dst_sel:DWORD dst_unused:UNUSED_PAD src0_sel:WORD_1 src1_sel:DWORD
	v_lshrrev_b32_e32 v45, 16, v22
	v_mul_f16_sdwa v46, v17, v26 dst_sel:DWORD dst_unused:UNUSED_PAD src0_sel:WORD_1 src1_sel:DWORD
	v_fma_f16 v26, v17, v26, -v36
	v_mul_f16_sdwa v36, v18, v21 dst_sel:DWORD dst_unused:UNUSED_PAD src0_sel:WORD_1 src1_sel:DWORD
	v_mul_f16_sdwa v47, v13, v32 dst_sel:DWORD dst_unused:UNUSED_PAD src0_sel:WORD_1 src1_sel:DWORD
	v_mul_f16_sdwa v48, v15, v34 dst_sel:DWORD dst_unused:UNUSED_PAD src0_sel:WORD_1 src1_sel:DWORD
	v_fma_f16 v34, v15, v34, -v42
	v_mul_f16_sdwa v42, v18, v44 dst_sel:DWORD dst_unused:UNUSED_PAD src0_sel:WORD_1 src1_sel:DWORD
	v_lshrrev_b32_e32 v35, 16, v24
	v_fma_f16 v32, v13, v32, -v41
	v_mul_f16_sdwa v41, v14, v22 dst_sel:DWORD dst_unused:UNUSED_PAD src0_sel:WORD_1 src1_sel:DWORD
	v_fmac_f16_e32 v46, v17, v12
	v_fma_f16 v12, v18, v44, -v36
	v_fmac_f16_e32 v42, v18, v21
	v_fmac_f16_e32 v47, v13, v19
	v_mul_f16_sdwa v13, v14, v45 dst_sel:DWORD dst_unused:UNUSED_PAD src0_sel:WORD_1 src1_sel:DWORD
	v_mul_f16_sdwa v43, v16, v24 dst_sel:DWORD dst_unused:UNUSED_PAD src0_sel:WORD_1 src1_sel:DWORD
	;; [unrolled: 1-line block ×3, first 2 shown]
	v_fma_f16 v17, v14, v45, -v41
	v_fmac_f16_e32 v48, v15, v20
	v_add_f16_e32 v15, v46, v42
	v_fmac_f16_e32 v13, v14, v22
	v_add_f16_e32 v14, v26, v12
	v_fma_f16 v35, v16, v35, -v43
	v_fmac_f16_e32 v49, v16, v24
	v_add_f16_e32 v16, v9, v46
	v_fma_f16 v9, -0.5, v15, v9
	v_sub_f16_e32 v15, v26, v12
	v_add_f16_e32 v18, v25, v26
	v_fmac_f16_e32 v25, -0.5, v14
	v_sub_f16_e32 v14, v46, v42
	v_lshrrev_b32_e32 v30, 16, v10
	v_fmamk_f16 v19, v15, 0xbaee, v9
	v_fmac_f16_e32 v9, 0x3aee, v15
	v_add_f16_e32 v12, v18, v12
	v_add_f16_e32 v15, v47, v13
	v_fmamk_f16 v18, v14, 0x3aee, v25
	v_add_f16_e32 v20, v10, v47
	v_fmac_f16_e32 v25, 0xbaee, v14
	v_add_f16_e32 v14, v32, v17
	v_fmac_f16_e32 v10, -0.5, v15
	v_sub_f16_e32 v15, v32, v17
	v_add_f16_e32 v20, v20, v13
	v_add_f16_e32 v21, v30, v32
	v_fmac_f16_e32 v30, -0.5, v14
	v_sub_f16_e32 v13, v47, v13
	v_lshrrev_b32_e32 v33, 16, v11
	v_fmamk_f16 v14, v15, 0xbaee, v10
	v_fmac_f16_e32 v10, 0x3aee, v15
	v_add_f16_e32 v15, v21, v17
	v_add_f16_e32 v17, v48, v49
	v_fmamk_f16 v21, v13, 0x3aee, v30
	v_fmac_f16_e32 v30, 0xbaee, v13
	v_add_f16_e32 v13, v34, v35
	v_add_f16_e32 v16, v16, v42
	;; [unrolled: 1-line block ×3, first 2 shown]
	v_fmac_f16_e32 v11, -0.5, v17
	v_sub_f16_e32 v17, v34, v35
	v_add_f16_e32 v24, v33, v34
	v_fmac_f16_e32 v33, -0.5, v13
	v_sub_f16_e32 v13, v48, v49
	v_pack_b32_f16 v12, v16, v12
	v_pack_b32_f16 v16, v19, v18
	v_add_f16_e32 v22, v22, v49
	v_fmamk_f16 v26, v17, 0xbaee, v11
	v_fmac_f16_e32 v11, 0x3aee, v17
	v_add_f16_e32 v17, v24, v35
	v_fmamk_f16 v24, v13, 0x3aee, v33
	v_fmac_f16_e32 v33, 0xbaee, v13
	v_pack_b32_f16 v9, v9, v25
	ds_write2_b32 v38, v12, v16 offset1:13
	v_pack_b32_f16 v12, v20, v15
	v_pack_b32_f16 v13, v14, v21
	;; [unrolled: 1-line block ×6, first 2 shown]
	ds_write_b32 v38, v9 offset:104
	ds_write2_b32 v39, v12, v13 offset1:13
	ds_write_b32 v39, v10 offset:104
	ds_write2_b32 v40, v14, v15 offset1:13
	ds_write_b32 v40, v11 offset:104
	s_waitcnt lgkmcnt(0)
	s_barrier
	buffer_gl0_inv
	ds_read2_b32 v[9:10], v37 offset1:39
	ds_read2_b32 v[11:12], v37 offset0:78 offset1:117
	ds_read2_b32 v[13:14], v37 offset0:156 offset1:195
	;; [unrolled: 1-line block ×3, first 2 shown]
	ds_read_b32 v17, v37 offset:1248
	s_waitcnt lgkmcnt(4)
	v_lshrrev_b32_e32 v18, 16, v10
	s_waitcnt lgkmcnt(3)
	v_lshrrev_b32_e32 v20, 16, v11
	v_lshrrev_b32_e32 v21, 16, v12
	s_waitcnt lgkmcnt(2)
	v_lshrrev_b32_e32 v22, 16, v13
	v_lshrrev_b32_e32 v24, 16, v14
	v_mul_f16_sdwa v23, v4, v18 dst_sel:DWORD dst_unused:UNUSED_PAD src0_sel:WORD_1 src1_sel:DWORD
	v_mul_f16_sdwa v32, v5, v20 dst_sel:DWORD dst_unused:UNUSED_PAD src0_sel:WORD_1 src1_sel:DWORD
	;; [unrolled: 1-line block ×3, first 2 shown]
	s_waitcnt lgkmcnt(1)
	v_lshrrev_b32_e32 v25, 16, v15
	v_lshrrev_b32_e32 v26, 16, v16
	v_fmac_f16_e32 v23, v4, v10
	v_mul_f16_sdwa v10, v4, v10 dst_sel:DWORD dst_unused:UNUSED_PAD src0_sel:WORD_1 src1_sel:DWORD
	s_waitcnt lgkmcnt(0)
	v_lshrrev_b32_e32 v30, 16, v17
	v_mul_f16_sdwa v33, v5, v11 dst_sel:DWORD dst_unused:UNUSED_PAD src0_sel:WORD_1 src1_sel:DWORD
	v_mul_f16_sdwa v35, v6, v12 dst_sel:DWORD dst_unused:UNUSED_PAD src0_sel:WORD_1 src1_sel:DWORD
	v_fmac_f16_e32 v32, v5, v11
	v_fma_f16 v4, v4, v18, -v10
	v_fmac_f16_e32 v34, v6, v12
	v_mul_f16_sdwa v10, v7, v22 dst_sel:DWORD dst_unused:UNUSED_PAD src0_sel:WORD_1 src1_sel:DWORD
	v_mul_f16_sdwa v11, v7, v13 dst_sel:DWORD dst_unused:UNUSED_PAD src0_sel:WORD_1 src1_sel:DWORD
	v_mul_f16_sdwa v12, v0, v24 dst_sel:DWORD dst_unused:UNUSED_PAD src0_sel:WORD_1 src1_sel:DWORD
	v_mul_f16_sdwa v18, v0, v14 dst_sel:DWORD dst_unused:UNUSED_PAD src0_sel:WORD_1 src1_sel:DWORD
	v_fma_f16 v5, v5, v20, -v33
	v_mul_f16_sdwa v20, v1, v25 dst_sel:DWORD dst_unused:UNUSED_PAD src0_sel:WORD_1 src1_sel:DWORD
	v_fmac_f16_e32 v10, v7, v13
	v_fma_f16 v7, v7, v22, -v11
	v_fmac_f16_e32 v12, v0, v14
	v_fma_f16 v0, v0, v24, -v18
	v_mul_f16_sdwa v11, v3, v30 dst_sel:DWORD dst_unused:UNUSED_PAD src0_sel:WORD_1 src1_sel:DWORD
	v_mul_f16_sdwa v13, v3, v17 dst_sel:DWORD dst_unused:UNUSED_PAD src0_sel:WORD_1 src1_sel:DWORD
	v_mul_f16_sdwa v14, v2, v26 dst_sel:DWORD dst_unused:UNUSED_PAD src0_sel:WORD_1 src1_sel:DWORD
	v_mul_f16_sdwa v18, v2, v16 dst_sel:DWORD dst_unused:UNUSED_PAD src0_sel:WORD_1 src1_sel:DWORD
	v_fmac_f16_e32 v20, v1, v15
	v_mul_f16_sdwa v15, v1, v15 dst_sel:DWORD dst_unused:UNUSED_PAD src0_sel:WORD_1 src1_sel:DWORD
	v_fmac_f16_e32 v11, v3, v17
	v_fma_f16 v3, v3, v30, -v13
	v_fmac_f16_e32 v14, v2, v16
	v_fma_f16 v2, v2, v26, -v18
	v_fma_f16 v6, v6, v21, -v35
	;; [unrolled: 1-line block ×3, first 2 shown]
	v_add_f16_e32 v13, v23, v11
	v_add_f16_e32 v15, v4, v3
	;; [unrolled: 1-line block ×4, first 2 shown]
	v_sub_f16_e32 v11, v23, v11
	v_add_f16_e32 v18, v34, v20
	v_add_f16_e32 v21, v6, v1
	;; [unrolled: 1-line block ×4, first 2 shown]
	v_sub_f16_e32 v3, v4, v3
	v_sub_f16_e32 v4, v32, v14
	v_mul_f16_e32 v14, 0x3924, v11
	v_sub_f16_e32 v23, v10, v12
	v_sub_f16_e32 v24, v7, v0
	v_add_f16_e32 v39, v18, v35
	v_add_f16_e32 v40, v21, v36
	v_sub_f16_e32 v20, v34, v20
	v_fmac_f16_e32 v14, 0x3be1, v4
	v_add_f16_e32 v25, v10, v12
	v_add_f16_e32 v26, v7, v0
	v_mul_f16_e32 v30, 0xb924, v24
	v_mul_f16_e32 v33, 0xb924, v23
	v_add_f16_e32 v10, v10, v39
	v_add_f16_e32 v7, v7, v40
	v_lshrrev_b32_e32 v19, 16, v9
	v_sub_f16_e32 v1, v6, v1
	v_fmac_f16_e32 v14, 0x3aee, v20
	v_fmamk_f16 v32, v25, 0x3a21, v9
	v_fmac_f16_e32 v30, 0x3be1, v3
	v_fmac_f16_e32 v33, 0x3be1, v11
	v_add_f16_e32 v10, v12, v10
	v_add_f16_e32 v0, v0, v7
	v_sub_f16_e32 v2, v5, v2
	v_mul_f16_e32 v5, 0x3924, v3
	v_fmamk_f16 v6, v13, 0x3a21, v9
	v_fmamk_f16 v22, v15, 0x3a21, v19
	v_fmac_f16_e32 v14, 0x3579, v23
	v_fmamk_f16 v34, v26, 0x3a21, v19
	v_fmac_f16_e32 v32, 0x318f, v13
	v_fmac_f16_e32 v30, 0xbaee, v1
	;; [unrolled: 1-line block ×3, first 2 shown]
	v_add_f16_e32 v37, v23, v11
	v_add_f16_e32 v38, v24, v3
	;; [unrolled: 1-line block ×4, first 2 shown]
	v_mul_f16_e32 v12, 0x3be1, v23
	v_mul_f16_e32 v23, 0x3be1, v24
	v_add_f16_e32 v10, v10, v9
	v_add_f16_e32 v0, v0, v19
	v_fmac_f16_e32 v9, 0x3a21, v16
	v_fmac_f16_e32 v19, 0x3a21, v17
	;; [unrolled: 1-line block ×3, first 2 shown]
	v_fmac_f16_e32 v32, -0.5, v18
	v_fmac_f16_e32 v30, 0x3579, v2
	v_fmac_f16_e32 v33, 0x3579, v4
	v_sub_f16_e32 v37, v37, v4
	v_sub_f16_e32 v38, v38, v2
	v_fma_f16 v4, v4, 0xb924, -v12
	v_fma_f16 v2, v2, 0xb924, -v23
	v_fmac_f16_e32 v9, 0x318f, v25
	v_fmac_f16_e32 v19, 0x318f, v26
	;; [unrolled: 1-line block ×6, first 2 shown]
	v_add_f16_e32 v7, v25, v35
	v_add_f16_e32 v16, v26, v36
	v_fmac_f16_e32 v4, 0x3aee, v20
	v_fmac_f16_e32 v2, 0x3aee, v1
	v_fmac_f16_e32 v9, -0.5, v18
	v_fmac_f16_e32 v19, -0.5, v21
	v_fmac_f16_e32 v5, 0x3aee, v1
	v_fmac_f16_e32 v6, -0.5, v18
	v_fmac_f16_e32 v22, -0.5, v21
	;; [unrolled: 1-line block ×5, first 2 shown]
	v_fmac_f16_e32 v4, 0x3579, v11
	v_fmac_f16_e32 v2, 0x3579, v3
	;; [unrolled: 1-line block ×8, first 2 shown]
	v_mul_f16_e32 v39, 0x3aee, v37
	v_mul_f16_e32 v1, 0x3aee, v38
	v_fmac_f16_e32 v40, 0xbaee, v38
	v_fmac_f16_e32 v41, 0x3aee, v37
	v_sub_f16_e32 v3, v9, v2
	v_add_f16_e32 v7, v4, v19
	v_sub_f16_e32 v6, v6, v5
	v_add_f16_e32 v22, v14, v22
	;; [unrolled: 2-line block ×3, first 2 shown]
	v_fma_f16 v1, 2.0, v1, v40
	v_fma_f16 v11, -2.0, v39, v41
	v_fma_f16 v2, 2.0, v2, v3
	v_fma_f16 v4, -2.0, v4, v7
	;; [unrolled: 2-line block ×4, first 2 shown]
	v_pack_b32_f16 v0, v10, v0
	v_pack_b32_f16 v10, v6, v22
	v_add_nc_u32_e32 v6, 0x400, v29
	v_pack_b32_f16 v12, v32, v34
	v_pack_b32_f16 v13, v40, v41
	;; [unrolled: 1-line block ×7, first 2 shown]
	ds_write_b32 v31, v0
	ds_write2_b32 v29, v10, v12 offset0:39 offset1:78
	ds_write2_b32 v29, v13, v3 offset0:117 offset1:156
	;; [unrolled: 1-line block ×4, first 2 shown]
	s_waitcnt lgkmcnt(0)
	s_barrier
	buffer_gl0_inv
	s_and_b32 exec_lo, exec_lo, vcc_lo
	s_cbranch_execz .LBB0_15
; %bb.14:
	v_mad_u64_u32 v[11:12], null, s2, v8, 0
	s_clause 0x5
	global_load_dword v2, v27, s[20:21]
	global_load_dword v3, v27, s[20:21] offset:108
	global_load_dword v4, v27, s[20:21] offset:216
	;; [unrolled: 1-line block ×5, first 2 shown]
	ds_read_b32 v24, v31
	ds_read2_b32 v[15:16], v29 offset0:27 offset1:54
	ds_read2_b32 v[17:18], v29 offset0:81 offset1:108
	;; [unrolled: 1-line block ×3, first 2 shown]
	v_mad_u64_u32 v[13:14], null, s0, v28, 0
	v_mov_b32_e32 v7, v12
	s_mov_b32 s22, 0xc201756d
	s_mov_b32 s23, 0x3f6756ca
	s_mul_i32 s2, s1, 0x6c
	s_mul_hi_u32 s24, s0, 0x6c
	v_mad_u64_u32 v[19:20], null, s3, v8, v[7:8]
	s_clause 0x1
	global_load_dword v10, v27, s[20:21] offset:648
	global_load_dword v7, v27, s[20:21] offset:756
	v_mov_b32_e32 v9, v14
	s_mul_i32 s19, s0, 0x6c
	s_add_i32 s24, s24, s2
	v_mov_b32_e32 v12, v19
	s_waitcnt lgkmcnt(3)
	v_lshrrev_b32_e32 v19, 16, v24
	s_waitcnt lgkmcnt(2)
	v_lshrrev_b32_e32 v25, 16, v16
	;; [unrolled: 2-line block ×3, first 2 shown]
	v_lshlrev_b64 v[11:12], 2, v[11:12]
	v_add_co_u32 v30, vcc_lo, s6, v11
	v_add_co_ci_u32_e32 v31, vcc_lo, s7, v12, vcc_lo
	s_waitcnt lgkmcnt(0)
	v_lshrrev_b32_e32 v11, 16, v1
	s_waitcnt vmcnt(6)
	v_mul_f16_sdwa v32, v15, v3 dst_sel:DWORD dst_unused:UNUSED_PAD src0_sel:DWORD src1_sel:WORD_1
	s_waitcnt vmcnt(5)
	v_mul_f16_sdwa v33, v25, v4 dst_sel:DWORD dst_unused:UNUSED_PAD src0_sel:DWORD src1_sel:WORD_1
	v_mul_f16_sdwa v34, v16, v4 dst_sel:DWORD dst_unused:UNUSED_PAD src0_sel:DWORD src1_sel:WORD_1
	s_waitcnt vmcnt(4)
	v_mul_f16_sdwa v36, v17, v5 dst_sel:DWORD dst_unused:UNUSED_PAD src0_sel:DWORD src1_sel:WORD_1
	s_waitcnt vmcnt(3)
	v_mul_f16_sdwa v38, v18, v22 dst_sel:DWORD dst_unused:UNUSED_PAD src0_sel:DWORD src1_sel:WORD_1
	v_mul_f16_sdwa v37, v26, v22 dst_sel:DWORD dst_unused:UNUSED_PAD src0_sel:DWORD src1_sel:WORD_1
	v_fmac_f16_e32 v33, v16, v4
	v_fma_f16 v4, v4, v25, -v34
	s_waitcnt vmcnt(2)
	v_mul_f16_sdwa v40, v0, v23 dst_sel:DWORD dst_unused:UNUSED_PAD src0_sel:DWORD src1_sel:WORD_1
	v_fmac_f16_e32 v37, v18, v22
	s_waitcnt vmcnt(1)
	v_mad_u64_u32 v[20:21], null, s1, v28, v[9:10]
	v_lshrrev_b32_e32 v21, 16, v15
	v_lshrrev_b32_e32 v28, 16, v0
	s_clause 0x1
	global_load_dword v8, v27, s[20:21] offset:864
	global_load_dword v9, v27, s[20:21] offset:972
	v_mov_b32_e32 v14, v20
	v_lshrrev_b32_e32 v20, 16, v17
	v_mul_f16_sdwa v39, v28, v23 dst_sel:DWORD dst_unused:UNUSED_PAD src0_sel:DWORD src1_sel:WORD_1
	v_lshlrev_b64 v[13:14], 2, v[13:14]
	v_mul_f16_sdwa v35, v20, v5 dst_sel:DWORD dst_unused:UNUSED_PAD src0_sel:DWORD src1_sel:WORD_1
	v_fma_f16 v16, v5, v20, -v36
	v_cvt_f32_f16_e32 v20, v4
	v_fmac_f16_e32 v39, v0, v23
	v_fma_f16 v0, v23, v28, -v40
	v_add_co_u32 v12, vcc_lo, v30, v13
	v_add_co_ci_u32_e32 v13, vcc_lo, v31, v14, vcc_lo
	v_mul_f16_sdwa v14, v19, v2 dst_sel:DWORD dst_unused:UNUSED_PAD src0_sel:DWORD src1_sel:WORD_1
	v_mul_f16_sdwa v30, v24, v2 dst_sel:DWORD dst_unused:UNUSED_PAD src0_sel:DWORD src1_sel:WORD_1
	;; [unrolled: 1-line block ×3, first 2 shown]
	v_fmac_f16_e32 v35, v17, v5
	v_cvt_f32_f16_e32 v34, v39
	v_fmac_f16_e32 v14, v24, v2
	v_fma_f16 v2, v2, v19, -v30
	v_fmac_f16_e32 v31, v15, v3
	v_fma_f16 v15, v3, v21, -v32
	v_cvt_f32_f16_e32 v19, v33
	v_cvt_f32_f16_e32 v3, v14
	;; [unrolled: 1-line block ×3, first 2 shown]
	v_fma_f16 v14, v22, v26, -v38
	v_cvt_f32_f16_e32 v17, v31
	v_cvt_f32_f16_e32 v18, v15
	v_cvt_f64_f32_e32 v[2:3], v3
	v_cvt_f64_f32_e32 v[4:5], v5
	v_cvt_f32_f16_e32 v28, v14
	v_cvt_f64_f32_e32 v[14:15], v17
	v_cvt_f32_f16_e32 v24, v16
	v_cvt_f64_f32_e32 v[16:17], v18
	v_cvt_f64_f32_e32 v[18:19], v19
	v_cvt_f32_f16_e32 v0, v0
	v_cvt_f32_f16_e32 v22, v35
	v_cvt_f64_f32_e32 v[20:21], v20
	v_cvt_f32_f16_e32 v26, v37
	v_cvt_f64_f32_e32 v[24:25], v24
	v_cvt_f64_f32_e32 v[36:37], v0
	;; [unrolled: 1-line block ×3, first 2 shown]
	v_add_co_u32 v40, vcc_lo, v12, s19
	v_add_co_ci_u32_e32 v41, vcc_lo, s24, v13, vcc_lo
	v_cvt_f64_f32_e32 v[30:31], v26
	v_add_co_u32 v44, vcc_lo, v40, s19
	v_add_co_ci_u32_e32 v45, vcc_lo, s24, v41, vcc_lo
	v_mul_f64 v[38:39], v[2:3], s[22:23]
	v_mul_f64 v[42:43], v[4:5], s[22:23]
	;; [unrolled: 1-line block ×3, first 2 shown]
	v_cvt_f64_f32_e32 v[32:33], v28
	v_mul_f64 v[16:17], v[16:17], s[22:23]
	v_mul_f64 v[18:19], v[18:19], s[22:23]
	v_add_co_u32 v2, vcc_lo, v44, s19
	v_mul_f64 v[20:21], v[20:21], s[22:23]
	v_add_co_ci_u32_e32 v3, vcc_lo, s24, v45, vcc_lo
	v_mul_f64 v[4:5], v[36:37], s[22:23]
	v_cvt_f64_f32_e32 v[34:35], v34
	v_mul_f64 v[22:23], v[22:23], s[22:23]
	v_mul_f64 v[24:25], v[24:25], s[22:23]
	;; [unrolled: 1-line block ×3, first 2 shown]
	v_and_or_b32 v0, 0x1ff, v39, v38
	v_and_or_b32 v37, 0x1ff, v43, v42
	;; [unrolled: 1-line block ×3, first 2 shown]
	v_mul_f64 v[32:33], v[32:33], s[22:23]
	v_and_or_b32 v16, 0x1ff, v17, v16
	v_cmp_ne_u32_e32 vcc_lo, 0, v0
	v_and_or_b32 v18, 0x1ff, v19, v18
	v_lshrrev_b32_e32 v26, 8, v39
	v_and_or_b32 v20, 0x1ff, v21, v20
	v_bfe_u32 v28, v39, 20, 11
	v_cndmask_b32_e64 v0, 0, 1, vcc_lo
	v_cmp_ne_u32_e32 vcc_lo, 0, v37
	v_mul_f64 v[34:35], v[34:35], s[22:23]
	v_and_or_b32 v22, 0x1ff, v23, v22
	v_and_or_b32 v24, 0x1ff, v25, v24
	v_lshrrev_b32_e32 v36, 16, v39
	v_cndmask_b32_e64 v37, 0, 1, vcc_lo
	v_cmp_ne_u32_e32 vcc_lo, 0, v14
	v_and_or_b32 v30, 0x1ff, v31, v30
	v_lshrrev_b32_e32 v38, 8, v43
	v_bfe_u32 v39, v43, 20, 11
	v_and_or_b32 v0, 0xffe, v26, v0
	v_cndmask_b32_e64 v14, 0, 1, vcc_lo
	v_cmp_ne_u32_e32 vcc_lo, 0, v16
	v_lshrrev_b32_e32 v42, 16, v43
	v_and_or_b32 v32, 0x1ff, v33, v32
	v_lshrrev_b32_e32 v43, 8, v15
	v_bfe_u32 v46, v15, 20, 11
	v_cndmask_b32_e64 v16, 0, 1, vcc_lo
	v_cmp_ne_u32_e32 vcc_lo, 0, v18
	v_bfe_u32 v48, v17, 20, 11
	v_sub_nc_u32_e32 v63, 0x3f1, v28
	v_add_nc_u32_e32 v28, 0xfffffc10, v28
	v_sub_nc_u32_e32 v64, 0x3f1, v39
	v_cndmask_b32_e64 v18, 0, 1, vcc_lo
	v_cmp_ne_u32_e32 vcc_lo, 0, v20
	v_and_or_b32 v34, 0x1ff, v35, v34
	v_and_or_b32 v37, 0xffe, v38, v37
	v_lshrrev_b32_e32 v47, 8, v17
	v_bfe_u32 v50, v19, 20, 11
	v_cndmask_b32_e64 v20, 0, 1, vcc_lo
	v_cmp_ne_u32_e32 vcc_lo, 0, v22
	v_bfe_u32 v52, v21, 20, 11
	v_add_nc_u32_e32 v39, 0xfffffc10, v39
	v_sub_nc_u32_e32 v65, 0x3f1, v46
	v_sub_nc_u32_e32 v66, 0x3f1, v48
	v_cndmask_b32_e64 v22, 0, 1, vcc_lo
	v_cmp_ne_u32_e32 vcc_lo, 0, v24
	v_med3_i32 v26, v63, 0, 13
	v_med3_i32 v38, v64, 0, 13
	v_and_or_b32 v14, 0xffe, v43, v14
	v_or_b32_e32 v63, 0x1000, v0
	v_cndmask_b32_e64 v24, 0, 1, vcc_lo
	v_cmp_ne_u32_e32 vcc_lo, 0, v30
	v_lshl_or_b32 v64, v28, 12, v0
	v_lshrrev_b32_e32 v49, 8, v19
	v_lshrrev_b32_e32 v51, 8, v21
	v_bfe_u32 v54, v23, 20, 11
	v_cndmask_b32_e64 v30, 0, 1, vcc_lo
	v_cmp_ne_u32_e32 vcc_lo, 0, v32
	v_bfe_u32 v56, v25, 20, 11
	v_add_nc_u32_e32 v46, 0xfffffc10, v46
	v_sub_nc_u32_e32 v67, 0x3f1, v50
	v_sub_nc_u32_e32 v68, 0x3f1, v52
	v_cndmask_b32_e64 v32, 0, 1, vcc_lo
	v_cmp_ne_u32_e32 vcc_lo, 0, v34
	v_med3_i32 v43, v65, 0, 13
	v_and_or_b32 v16, 0xffe, v47, v16
	v_med3_i32 v47, v66, 0, 13
	v_or_b32_e32 v65, 0x1000, v37
	v_cndmask_b32_e64 v34, 0, 1, vcc_lo
	v_cmp_ne_u32_e32 vcc_lo, 0, v0
	v_lshl_or_b32 v66, v39, 12, v37
	v_lshrrev_b32_e32 v53, 8, v23
	v_lshrrev_b32_e32 v55, 8, v25
	v_bfe_u32 v58, v31, 20, 11
	v_cndmask_b32_e64 v0, 0, 1, vcc_lo
	v_cmp_ne_u32_e32 vcc_lo, 0, v37
	v_bfe_u32 v60, v33, 20, 11
	v_add_nc_u32_e32 v48, 0xfffffc10, v48
	v_sub_nc_u32_e32 v69, 0x3f1, v54
	v_sub_nc_u32_e32 v70, 0x3f1, v56
	v_cndmask_b32_e64 v37, 0, 1, vcc_lo
	v_cmp_ne_u32_e32 vcc_lo, 0, v14
	v_and_or_b32 v18, 0xffe, v49, v18
	v_med3_i32 v49, v67, 0, 13
	v_and_or_b32 v20, 0xffe, v51, v20
	v_med3_i32 v51, v68, 0, 13
	v_or_b32_e32 v67, 0x1000, v14
	v_lshl_or_b32 v68, v46, 12, v14
	v_cndmask_b32_e64 v14, 0, 1, vcc_lo
	v_cmp_ne_u32_e32 vcc_lo, 0, v16
	v_lshrrev_b32_e32 v57, 8, v31
	v_lshrrev_b32_e32 v59, 8, v33
	v_add_nc_u32_e32 v50, 0xfffffc10, v50
	v_sub_nc_u32_e32 v71, 0x3f1, v58
	v_sub_nc_u32_e32 v72, 0x3f1, v60
	v_and_or_b32 v22, 0xffe, v53, v22
	v_med3_i32 v53, v69, 0, 13
	v_and_or_b32 v24, 0xffe, v55, v24
	v_med3_i32 v55, v70, 0, 13
	v_or_b32_e32 v69, 0x1000, v16
	v_lshl_or_b32 v70, v48, 12, v16
	v_cndmask_b32_e64 v16, 0, 1, vcc_lo
	v_cmp_ne_u32_e32 vcc_lo, 0, v18
	v_add_nc_u32_e32 v52, 0xfffffc10, v52
	v_and_or_b32 v30, 0xffe, v57, v30
	v_med3_i32 v57, v71, 0, 13
	v_and_or_b32 v32, 0xffe, v59, v32
	v_med3_i32 v59, v72, 0, 13
	v_or_b32_e32 v71, 0x1000, v18
	v_lshl_or_b32 v72, v50, 12, v18
	v_cndmask_b32_e64 v18, 0, 1, vcc_lo
	v_cmp_ne_u32_e32 vcc_lo, 0, v20
	v_add_nc_u32_e32 v54, 0xfffffc10, v54
	v_or_b32_e32 v73, 0x1000, v20
	v_lshl_or_b32 v74, v52, 12, v20
	v_add_nc_u32_e32 v56, 0xfffffc10, v56
	v_cndmask_b32_e64 v20, 0, 1, vcc_lo
	v_cmp_ne_u32_e32 vcc_lo, 0, v22
	v_or_b32_e32 v75, 0x1000, v22
	v_lshl_or_b32 v76, v54, 12, v22
	v_lshrrev_b32_e32 v83, v26, v63
	v_add_nc_u32_e32 v58, 0xfffffc10, v58
	v_cndmask_b32_e64 v22, 0, 1, vcc_lo
	v_cmp_ne_u32_e32 vcc_lo, 0, v24
	v_or_b32_e32 v77, 0x1000, v24
	v_lshl_or_b32 v78, v56, 12, v24
	v_lshrrev_b32_e32 v84, v38, v65
	v_lshlrev_b32_e32 v26, v26, v83
	v_cndmask_b32_e64 v24, 0, 1, vcc_lo
	v_cmp_ne_u32_e32 vcc_lo, 0, v30
	v_or_b32_e32 v79, 0x1000, v30
	v_lshl_or_b32 v80, v58, 12, v30
	v_lshrrev_b32_e32 v85, v43, v67
	v_lshlrev_b32_e32 v38, v38, v84
	v_cndmask_b32_e64 v30, 0, 1, vcc_lo
	v_cmp_ne_u32_e32 vcc_lo, v26, v63
	v_lshrrev_b32_e32 v86, v47, v69
	v_lshlrev_b32_e32 v43, v43, v85
	v_lshrrev_b32_e32 v87, v49, v71
	v_lshrrev_b32_e32 v88, v51, v73
	v_cndmask_b32_e64 v26, 0, 1, vcc_lo
	v_cmp_ne_u32_e32 vcc_lo, v38, v65
	v_lshlrev_b32_e32 v47, v47, v86
	v_lshlrev_b32_e32 v49, v49, v87
	v_lshrrev_b32_e32 v89, v53, v75
	v_lshlrev_b32_e32 v51, v51, v88
	v_cndmask_b32_e64 v38, 0, 1, vcc_lo
	v_cmp_ne_u32_e32 vcc_lo, v43, v67
	v_lshrrev_b32_e32 v90, v55, v77
	v_lshlrev_b32_e32 v53, v53, v89
	v_or_b32_e32 v81, 0x1000, v32
	v_lshrrev_b32_e32 v91, v57, v79
	v_cndmask_b32_e64 v43, 0, 1, vcc_lo
	v_cmp_ne_u32_e32 vcc_lo, v47, v69
	v_lshlrev_b32_e32 v55, v55, v90
	v_lshrrev_b32_e32 v92, v59, v81
	v_lshlrev_b32_e32 v57, v57, v91
	v_or_b32_e32 v26, v83, v26
	v_cndmask_b32_e64 v47, 0, 1, vcc_lo
	v_cmp_ne_u32_e32 vcc_lo, v49, v71
	v_lshlrev_b32_e32 v59, v59, v92
	v_or_b32_e32 v38, v84, v38
	v_or_b32_e32 v43, v85, v43
	;; [unrolled: 1-line block ×3, first 2 shown]
	v_cndmask_b32_e64 v49, 0, 1, vcc_lo
	v_cmp_ne_u32_e32 vcc_lo, v51, v73
	v_add_nc_u32_e32 v60, 0xfffffc10, v60
	v_lshl_or_b32 v0, v0, 9, 0x7c00
	v_lshl_or_b32 v37, v37, 9, 0x7c00
	v_or_b32_e32 v49, v87, v49
	v_cndmask_b32_e64 v51, 0, 1, vcc_lo
	v_cmp_ne_u32_e32 vcc_lo, v53, v75
	v_lshl_or_b32 v82, v60, 12, v32
	v_lshl_or_b32 v14, v14, 9, 0x7c00
	;; [unrolled: 1-line block ×3, first 2 shown]
	v_or_b32_e32 v51, v88, v51
	v_cndmask_b32_e64 v53, 0, 1, vcc_lo
	v_cmp_ne_u32_e32 vcc_lo, v55, v77
	v_lshl_or_b32 v18, v18, 9, 0x7c00
	v_lshl_or_b32 v20, v20, 9, 0x7c00
	v_lshrrev_b32_e32 v15, 16, v15
	v_or_b32_e32 v53, v89, v53
	v_cndmask_b32_e64 v55, 0, 1, vcc_lo
	v_cmp_ne_u32_e32 vcc_lo, v57, v79
	v_lshrrev_b32_e32 v17, 16, v17
	v_lshrrev_b32_e32 v19, 16, v19
	v_lshl_or_b32 v22, v22, 9, 0x7c00
	v_or_b32_e32 v55, v90, v55
	v_cndmask_b32_e64 v57, 0, 1, vcc_lo
	v_cmp_ne_u32_e32 vcc_lo, v59, v81
	v_lshrrev_b32_e32 v21, 16, v21
	v_lshl_or_b32 v24, v24, 9, 0x7c00
	v_lshrrev_b32_e32 v23, 16, v23
	v_or_b32_e32 v57, v91, v57
	v_cndmask_b32_e64 v59, 0, 1, vcc_lo
	v_cmp_gt_i32_e32 vcc_lo, 1, v28
	v_lshl_or_b32 v30, v30, 9, 0x7c00
	v_lshrrev_b32_e32 v25, 16, v25
	v_lshrrev_b32_e32 v61, 8, v35
	v_or_b32_e32 v59, v92, v59
	v_cndmask_b32_e32 v26, v64, v26, vcc_lo
	v_cmp_gt_i32_e32 vcc_lo, 1, v39
	v_bfe_u32 v62, v35, 20, 11
	v_and_or_b32 v4, 0x1ff, v5, v4
	v_lshrrev_b32_e32 v31, 16, v31
	v_and_b32_e32 v63, 7, v26
	v_cndmask_b32_e32 v38, v66, v38, vcc_lo
	v_cmp_gt_i32_e32 vcc_lo, 1, v46
	v_lshrrev_b32_e32 v26, 2, v26
	v_cmp_eq_u32_e64 s0, 3, v63
	v_and_b32_e32 v64, 7, v38
	v_cndmask_b32_e32 v43, v68, v43, vcc_lo
	v_cmp_gt_i32_e32 vcc_lo, 1, v48
	v_lshrrev_b32_e32 v38, 2, v38
	v_cmp_lt_i32_e64 s1, 5, v64
	v_and_b32_e32 v65, 7, v43
	v_cndmask_b32_e32 v47, v70, v47, vcc_lo
	v_cmp_gt_i32_e32 vcc_lo, 1, v50
	v_cmp_eq_u32_e64 s2, 3, v64
	v_lshrrev_b32_e32 v43, 2, v43
	v_cmp_lt_i32_e64 s3, 5, v65
	v_and_b32_e32 v66, 7, v47
	v_cndmask_b32_e32 v49, v72, v49, vcc_lo
	v_cmp_gt_i32_e32 vcc_lo, 1, v52
	v_cmp_eq_u32_e64 s4, 3, v65
	v_lshrrev_b32_e32 v47, 2, v47
	v_cmp_lt_i32_e64 s5, 5, v66
	v_and_b32_e32 v67, 7, v49
	v_cndmask_b32_e32 v51, v74, v51, vcc_lo
	v_cmp_gt_i32_e32 vcc_lo, 1, v54
	v_cmp_eq_u32_e64 s6, 3, v66
	v_lshrrev_b32_e32 v49, 2, v49
	v_cmp_lt_i32_e64 s7, 5, v67
	v_and_b32_e32 v68, 7, v51
	v_cndmask_b32_e32 v53, v76, v53, vcc_lo
	v_cmp_gt_i32_e32 vcc_lo, 1, v56
	v_cmp_eq_u32_e64 s8, 3, v67
	v_lshrrev_b32_e32 v51, 2, v51
	v_cmp_lt_i32_e64 s9, 5, v68
	v_and_b32_e32 v69, 7, v53
	v_cndmask_b32_e32 v55, v78, v55, vcc_lo
	v_cmp_gt_i32_e32 vcc_lo, 1, v58
	v_cmp_eq_u32_e64 s10, 3, v68
	v_lshrrev_b32_e32 v53, 2, v53
	v_cmp_lt_i32_e64 s11, 5, v69
	v_and_b32_e32 v70, 7, v55
	v_cndmask_b32_e32 v57, v80, v57, vcc_lo
	v_cmp_gt_i32_e32 vcc_lo, 1, v60
	v_cmp_eq_u32_e64 s12, 3, v69
	v_lshrrev_b32_e32 v55, 2, v55
	v_cmp_lt_i32_e64 s13, 5, v70
	v_and_b32_e32 v71, 7, v57
	v_cndmask_b32_e32 v59, v82, v59, vcc_lo
	v_cmp_lt_i32_e32 vcc_lo, 5, v63
	v_cmp_eq_u32_e64 s14, 3, v70
	v_lshrrev_b32_e32 v57, 2, v57
	v_cmp_lt_i32_e64 s15, 5, v71
	v_cmp_eq_u32_e64 s16, 3, v71
	s_or_b32 vcc_lo, s0, vcc_lo
	v_and_b32_e32 v72, 7, v59
	v_add_co_ci_u32_e32 v26, vcc_lo, 0, v26, vcc_lo
	s_or_b32 vcc_lo, s2, s1
	v_lshrrev_b32_e32 v59, 2, v59
	v_add_co_ci_u32_e32 v38, vcc_lo, 0, v38, vcc_lo
	s_or_b32 vcc_lo, s4, s3
	v_cmp_lt_i32_e64 s17, 5, v72
	v_add_co_ci_u32_e32 v43, vcc_lo, 0, v43, vcc_lo
	s_or_b32 vcc_lo, s6, s5
	v_cmp_eq_u32_e64 s18, 3, v72
	v_add_co_ci_u32_e32 v47, vcc_lo, 0, v47, vcc_lo
	s_or_b32 vcc_lo, s8, s7
	v_add_co_ci_u32_e32 v49, vcc_lo, 0, v49, vcc_lo
	s_or_b32 vcc_lo, s10, s9
	;; [unrolled: 2-line block ×5, first 2 shown]
	v_add_co_ci_u32_e32 v57, vcc_lo, 0, v57, vcc_lo
	v_cmp_gt_i32_e32 vcc_lo, 31, v28
	v_cndmask_b32_e32 v26, 0x7c00, v26, vcc_lo
	v_cmp_gt_i32_e32 vcc_lo, 31, v39
	v_cndmask_b32_e32 v38, 0x7c00, v38, vcc_lo
	;; [unrolled: 2-line block ×9, first 2 shown]
	v_cmp_eq_u32_e32 vcc_lo, 0x40f, v28
	v_cndmask_b32_e32 v0, v26, v0, vcc_lo
	v_cmp_eq_u32_e32 vcc_lo, 0x40f, v39
	v_and_or_b32 v0, 0x8000, v36, v0
	v_cndmask_b32_e32 v26, v38, v37, vcc_lo
	v_cmp_eq_u32_e32 vcc_lo, 0x40f, v46
	v_and_b32_e32 v0, 0xffff, v0
	v_and_or_b32 v26, 0x8000, v42, v26
	v_cndmask_b32_e32 v14, v43, v14, vcc_lo
	v_cmp_eq_u32_e32 vcc_lo, 0x40f, v48
	v_lshl_or_b32 v0, v26, 16, v0
	v_and_or_b32 v14, 0x8000, v15, v14
	v_cndmask_b32_e32 v16, v47, v16, vcc_lo
	v_cmp_eq_u32_e32 vcc_lo, 0x40f, v50
	v_and_b32_e32 v14, 0xffff, v14
	v_and_or_b32 v15, 0x8000, v17, v16
	v_cndmask_b32_e32 v18, v49, v18, vcc_lo
	v_cmp_eq_u32_e32 vcc_lo, 0x40f, v52
	v_lshl_or_b32 v14, v15, 16, v14
	v_and_or_b32 v16, 0x8000, v19, v18
	v_cndmask_b32_e32 v20, v51, v20, vcc_lo
	v_cmp_eq_u32_e32 vcc_lo, 0x40f, v54
	v_and_b32_e32 v16, 0xffff, v16
	v_and_or_b32 v17, 0x8000, v21, v20
	v_cndmask_b32_e32 v22, v53, v22, vcc_lo
	v_cmp_eq_u32_e32 vcc_lo, 0x40f, v56
	v_lshrrev_b32_e32 v20, 8, v5
	v_bfe_u32 v21, v5, 20, 11
	v_lshl_or_b32 v15, v17, 16, v16
	v_and_or_b32 v18, 0x8000, v23, v22
	v_cndmask_b32_e32 v24, v55, v24, vcc_lo
	v_cmp_eq_u32_e32 vcc_lo, 0x40f, v58
	global_store_dword v[12:13], v0, off
	global_store_dword v[40:41], v14, off
	;; [unrolled: 1-line block ×3, first 2 shown]
	v_and_or_b32 v14, 0xffe, v61, v34
	v_and_b32_e32 v18, 0xffff, v18
	v_and_or_b32 v19, 0x8000, v25, v24
	v_cndmask_b32_e32 v28, v57, v30, vcc_lo
	s_or_b32 vcc_lo, s18, s17
	v_sub_nc_u32_e32 v12, 0x3f1, v62
	v_add_co_ci_u32_e32 v0, vcc_lo, 0, v59, vcc_lo
	v_cmp_ne_u32_e32 vcc_lo, 0, v32
	v_mul_f16_sdwa v13, v11, v10 dst_sel:DWORD dst_unused:UNUSED_PAD src0_sel:DWORD src1_sel:WORD_1
	v_lshl_or_b32 v17, v19, 16, v18
	v_or_b32_e32 v18, 0x1000, v14
	v_med3_i32 v12, v12, 0, 13
	v_cndmask_b32_e64 v15, 0, 1, vcc_lo
	v_cmp_gt_i32_e32 vcc_lo, 31, v60
	v_fmac_f16_e32 v13, v1, v10
	v_and_or_b32 v16, 0x8000, v31, v28
	v_lshrrev_b32_e32 v19, v12, v18
	v_lshl_or_b32 v15, v15, 9, 0x7c00
	v_cndmask_b32_e32 v0, 0x7c00, v0, vcc_lo
	v_cmp_eq_u32_e32 vcc_lo, 0x40f, v60
	v_cvt_f32_f16_e32 v13, v13
	v_lshrrev_b32_e32 v23, 16, v33
	global_store_dword v[2:3], v17, off
	v_and_b32_e32 v16, 0xffff, v16
	v_cndmask_b32_e32 v0, v0, v15, vcc_lo
	v_lshlrev_b32_e32 v15, v12, v19
	v_cmp_ne_u32_e32 vcc_lo, 0, v4
	v_cvt_f64_f32_e32 v[12:13], v13
	global_load_dword v22, v27, s[20:21] offset:1080
	v_and_or_b32 v0, 0x8000, v23, v0
	v_mul_f16_sdwa v1, v1, v10 dst_sel:DWORD dst_unused:UNUSED_PAD src0_sel:DWORD src1_sel:WORD_1
	v_cndmask_b32_e64 v4, 0, 1, vcc_lo
	v_cmp_ne_u32_e32 vcc_lo, v15, v18
	v_add_nc_u32_e32 v18, 0xfffffc10, v62
	v_lshl_or_b32 v23, v0, 16, v16
	v_fma_f16 v1, v10, v11, -v1
	v_and_or_b32 v4, 0xffe, v20, v4
	v_cndmask_b32_e64 v15, 0, 1, vcc_lo
	v_sub_nc_u32_e32 v20, 0x3f1, v21
	v_cmp_gt_i32_e32 vcc_lo, 1, v18
	v_cvt_f32_f16_e32 v1, v1
	v_or_b32_e32 v24, 0x1000, v4
	v_or_b32_e32 v15, v19, v15
	v_lshl_or_b32 v19, v18, 12, v14
	v_med3_i32 v20, v20, 0, 13
	v_cndmask_b32_e32 v15, v19, v15, vcc_lo
	v_lshrrev_b32_e32 v17, v20, v24
	v_mul_f64 v[12:13], v[12:13], s[22:23]
	v_and_b32_e32 v19, 7, v15
	v_lshlrev_b32_e32 v0, v20, v17
	v_lshrrev_b32_e32 v10, 2, v15
	v_add_nc_u32_e32 v15, 0xfffffc10, v21
	v_cmp_lt_i32_e32 vcc_lo, 5, v19
	v_cmp_eq_u32_e64 s0, 3, v19
	v_cmp_ne_u32_e64 s1, v0, v24
	v_lshl_or_b32 v11, v15, 12, v4
	s_or_b32 vcc_lo, s0, vcc_lo
	v_cndmask_b32_e64 v0, 0, 1, s1
	v_add_co_ci_u32_e32 v16, vcc_lo, 0, v10, vcc_lo
	v_cmp_ne_u32_e32 vcc_lo, 0, v14
	v_or_b32_e32 v10, v17, v0
	v_cvt_f64_f32_e32 v[0:1], v1
	v_and_or_b32 v12, 0x1ff, v13, v12
	v_cndmask_b32_e64 v14, 0, 1, vcc_lo
	v_cmp_gt_i32_e32 vcc_lo, 1, v15
	v_lshrrev_b32_e32 v20, 8, v13
	v_bfe_u32 v21, v13, 20, 11
	v_lshl_or_b32 v14, v14, 9, 0x7c00
	v_cndmask_b32_e32 v17, v11, v10, vcc_lo
	v_cmp_gt_i32_e32 vcc_lo, 31, v18
	ds_read2_b32 v[10:11], v29 offset0:189 offset1:216
	v_and_b32_e32 v19, 7, v17
	v_cndmask_b32_e32 v16, 0x7c00, v16, vcc_lo
	v_cmp_ne_u32_e32 vcc_lo, 0, v12
	v_lshrrev_b32_e32 v17, 2, v17
	v_cmp_eq_u32_e64 s0, 3, v19
	v_cndmask_b32_e64 v12, 0, 1, vcc_lo
	v_cmp_eq_u32_e32 vcc_lo, 0x40f, v18
	v_mul_f64 v[0:1], v[0:1], s[22:23]
	v_sub_nc_u32_e32 v18, 0x3f1, v21
	v_and_or_b32 v12, 0xffe, v20, v12
	v_cndmask_b32_e32 v14, v16, v14, vcc_lo
	v_cmp_lt_i32_e32 vcc_lo, 5, v19
	v_med3_i32 v18, v18, 0, 13
	v_lshrrev_b32_e32 v16, 16, v35
	v_or_b32_e32 v19, 0x1000, v12
	s_waitcnt lgkmcnt(0)
	v_lshrrev_b32_e32 v20, 16, v10
	s_or_b32 vcc_lo, s0, vcc_lo
	v_add_co_ci_u32_e32 v17, vcc_lo, 0, v17, vcc_lo
	v_cmp_ne_u32_e32 vcc_lo, 0, v4
	v_lshrrev_b32_e32 v24, v18, v19
	s_waitcnt vmcnt(3)
	v_mul_f16_sdwa v25, v20, v7 dst_sel:DWORD dst_unused:UNUSED_PAD src0_sel:DWORD src1_sel:WORD_1
	v_and_or_b32 v14, 0x8000, v16, v14
	v_cndmask_b32_e64 v4, 0, 1, vcc_lo
	v_cmp_gt_i32_e32 vcc_lo, 31, v15
	v_lshlrev_b32_e32 v16, v18, v24
	v_fmac_f16_e32 v25, v10, v7
	v_and_or_b32 v0, 0x1ff, v1, v0
	v_lshl_or_b32 v4, v4, 9, 0x7c00
	v_cndmask_b32_e32 v17, 0x7c00, v17, vcc_lo
	v_cmp_eq_u32_e32 vcc_lo, 0x40f, v15
	v_add_nc_u32_e32 v18, 0xfffffc10, v21
	v_lshrrev_b32_e32 v21, 8, v1
	v_and_b32_e32 v14, 0xffff, v14
	v_mul_f16_sdwa v10, v10, v7 dst_sel:DWORD dst_unused:UNUSED_PAD src0_sel:DWORD src1_sel:WORD_1
	v_cndmask_b32_e32 v15, v17, v4, vcc_lo
	v_cmp_ne_u32_e32 vcc_lo, v16, v19
	global_load_dword v19, v27, s[20:21] offset:1188
	v_cvt_f32_f16_e32 v4, v25
	v_lshrrev_b32_e32 v17, 16, v5
	v_bfe_u32 v25, v1, 20, 11
	v_cndmask_b32_e64 v16, 0, 1, vcc_lo
	v_cmp_ne_u32_e32 vcc_lo, 0, v0
	v_cvt_f64_f32_e32 v[4:5], v4
	v_and_or_b32 v15, 0x8000, v17, v15
	v_lshl_or_b32 v17, v18, 12, v12
	v_or_b32_e32 v16, v24, v16
	v_cndmask_b32_e64 v0, 0, 1, vcc_lo
	v_cmp_gt_i32_e32 vcc_lo, 1, v18
	v_lshl_or_b32 v24, v15, 16, v14
	v_fma_f16 v7, v7, v20, -v10
	v_add_nc_u32_e32 v10, 0xfffffc10, v25
	v_and_or_b32 v0, 0xffe, v21, v0
	v_sub_nc_u32_e32 v21, 0x3f1, v25
	v_cndmask_b32_e32 v16, v17, v16, vcc_lo
	v_add_co_u32 v2, vcc_lo, v2, s19
	v_or_b32_e32 v17, 0x1000, v0
	v_med3_i32 v21, v21, 0, 13
	v_add_co_ci_u32_e32 v3, vcc_lo, s24, v3, vcc_lo
	v_and_b32_e32 v26, 7, v16
	v_add_co_u32 v14, vcc_lo, v2, s19
	v_lshrrev_b32_e32 v28, v21, v17
	v_mul_f64 v[4:5], v[4:5], s[22:23]
	v_add_co_ci_u32_e32 v15, vcc_lo, s24, v3, vcc_lo
	v_cmp_lt_i32_e32 vcc_lo, 5, v26
	v_lshlrev_b32_e32 v21, v21, v28
	v_cmp_eq_u32_e64 s0, 3, v26
	v_lshrrev_b32_e32 v16, 2, v16
	v_cvt_f32_f16_e32 v7, v7
	v_lshl_or_b32 v25, v10, 12, v0
	v_cmp_ne_u32_e64 s1, v21, v17
	s_or_b32 vcc_lo, s0, vcc_lo
	v_add_co_ci_u32_e32 v20, vcc_lo, 0, v16, vcc_lo
	v_cndmask_b32_e64 v17, 0, 1, s1
	v_cmp_ne_u32_e32 vcc_lo, 0, v12
	v_or_b32_e32 v21, v28, v17
	v_cndmask_b32_e64 v12, 0, 1, vcc_lo
	v_cmp_gt_i32_e32 vcc_lo, 1, v10
	v_cvt_f64_f32_e32 v[16:17], v7
	v_and_or_b32 v4, 0x1ff, v5, v4
	v_bfe_u32 v26, v5, 20, 11
	v_lshl_or_b32 v12, v12, 9, 0x7c00
	v_cndmask_b32_e32 v7, v25, v21, vcc_lo
	v_cmp_gt_i32_e32 vcc_lo, 31, v18
	v_lshrrev_b32_e32 v25, 8, v5
	v_and_b32_e32 v21, 7, v7
	v_cndmask_b32_e32 v20, 0x7c00, v20, vcc_lo
	v_cmp_ne_u32_e32 vcc_lo, 0, v4
	v_lshrrev_b32_e32 v7, 2, v7
	v_cmp_eq_u32_e64 s0, 3, v21
	v_cndmask_b32_e64 v4, 0, 1, vcc_lo
	v_cmp_eq_u32_e32 vcc_lo, 0x40f, v18
	v_and_or_b32 v4, 0xffe, v25, v4
	v_cndmask_b32_e32 v18, v20, v12, vcc_lo
	v_cmp_lt_i32_e32 vcc_lo, 5, v21
	v_sub_nc_u32_e32 v12, 0x3f1, v26
	v_lshrrev_b32_e32 v21, 16, v11
	v_lshrrev_b32_e32 v20, 16, v13
	v_or_b32_e32 v25, 0x1000, v4
	s_or_b32 vcc_lo, s0, vcc_lo
	v_med3_i32 v28, v12, 0, 13
	v_mul_f64 v[12:13], v[16:17], s[22:23]
	v_add_co_ci_u32_e32 v7, vcc_lo, 0, v7, vcc_lo
	s_waitcnt vmcnt(3)
	v_mul_f16_sdwa v16, v21, v8 dst_sel:DWORD dst_unused:UNUSED_PAD src0_sel:DWORD src1_sel:WORD_1
	v_cmp_ne_u32_e32 vcc_lo, 0, v0
	v_lshrrev_b32_e32 v17, v28, v25
	v_and_or_b32 v18, 0x8000, v20, v18
	v_fmac_f16_e32 v16, v11, v8
	v_cndmask_b32_e64 v0, 0, 1, vcc_lo
	v_cmp_gt_i32_e32 vcc_lo, 31, v10
	v_lshlrev_b32_e32 v20, v28, v17
	v_cvt_f32_f16_e32 v16, v16
	v_lshl_or_b32 v0, v0, 9, 0x7c00
	v_cndmask_b32_e32 v7, 0x7c00, v7, vcc_lo
	v_cmp_eq_u32_e32 vcc_lo, 0x40f, v10
	v_lshrrev_b32_e32 v10, 16, v1
	v_cndmask_b32_e32 v7, v7, v0, vcc_lo
	v_cvt_f64_f32_e32 v[0:1], v16
	v_cmp_ne_u32_e32 vcc_lo, v20, v25
	v_and_or_b32 v12, 0x1ff, v13, v12
	v_add_nc_u32_e32 v20, 0xfffffc10, v26
	v_and_or_b32 v7, 0x8000, v10, v7
	v_and_b32_e32 v10, 0xffff, v18
	v_cndmask_b32_e64 v16, 0, 1, vcc_lo
	v_cmp_ne_u32_e32 vcc_lo, 0, v12
	v_lshrrev_b32_e32 v18, 8, v13
	v_bfe_u32 v25, v13, 20, 11
	v_lshl_or_b32 v7, v7, 16, v10
	v_or_b32_e32 v16, v17, v16
	v_cndmask_b32_e64 v12, 0, 1, vcc_lo
	v_lshl_or_b32 v17, v20, 12, v4
	v_cmp_gt_i32_e32 vcc_lo, 1, v20
	v_lshrrev_b32_e32 v13, 16, v13
	v_and_or_b32 v12, 0xffe, v18, v12
	v_sub_nc_u32_e32 v18, 0x3f1, v25
	v_cndmask_b32_e32 v10, v17, v16, vcc_lo
	v_add_co_u32 v16, vcc_lo, v14, s19
	v_mul_f64 v[0:1], v[0:1], s[22:23]
	v_or_b32_e32 v26, 0x1000, v12
	v_med3_i32 v18, v18, 0, 13
	v_add_co_ci_u32_e32 v17, vcc_lo, s24, v15, vcc_lo
	v_and_b32_e32 v28, 7, v10
	global_store_dword v[2:3], v23, off
	global_store_dword v[14:15], v24, off
	;; [unrolled: 1-line block ×3, first 2 shown]
	v_lshrrev_b32_e32 v14, v18, v26
	v_lshrrev_b32_e32 v3, 2, v10
	v_mul_f16_sdwa v2, v11, v8 dst_sel:DWORD dst_unused:UNUSED_PAD src0_sel:DWORD src1_sel:WORD_1
	v_cmp_lt_i32_e32 vcc_lo, 5, v28
	v_cmp_eq_u32_e64 s0, 3, v28
	v_lshlrev_b32_e32 v7, v18, v14
	v_add_nc_u32_e32 v10, 0x200, v29
	v_fma_f16 v8, v8, v21, -v2
	v_add_nc_u32_e32 v15, 0xfffffc10, v25
	s_or_b32 vcc_lo, s0, vcc_lo
	v_add_co_ci_u32_e32 v11, vcc_lo, 0, v3, vcc_lo
	v_cmp_ne_u32_e32 vcc_lo, v7, v26
	ds_read2_b32 v[2:3], v10 offset0:115 offset1:142
	v_and_or_b32 v0, 0x1ff, v1, v0
	v_cvt_f32_f16_e32 v7, v8
	v_lshrrev_b32_e32 v18, 8, v1
	v_cndmask_b32_e64 v10, 0, 1, vcc_lo
	v_cmp_gt_i32_e32 vcc_lo, 31, v20
	v_bfe_u32 v21, v1, 20, 11
	v_cvt_f64_f32_e32 v[7:8], v7
	v_or_b32_e32 v10, v14, v10
	v_cndmask_b32_e32 v11, 0x7c00, v11, vcc_lo
	v_cmp_ne_u32_e32 vcc_lo, 0, v0
	v_lshl_or_b32 v14, v15, 12, v12
	v_cndmask_b32_e64 v0, 0, 1, vcc_lo
	v_cmp_ne_u32_e32 vcc_lo, 0, v4
	v_and_or_b32 v0, 0xffe, v18, v0
	v_cndmask_b32_e64 v4, 0, 1, vcc_lo
	v_cmp_gt_i32_e32 vcc_lo, 1, v15
	s_waitcnt lgkmcnt(0)
	v_lshrrev_b32_e32 v18, 16, v2
	v_or_b32_e32 v24, 0x1000, v0
	v_lshl_or_b32 v4, v4, 9, 0x7c00
	v_cndmask_b32_e32 v10, v14, v10, vcc_lo
	v_sub_nc_u32_e32 v14, 0x3f1, v21
	v_cmp_eq_u32_e32 vcc_lo, 0x40f, v20
	s_waitcnt vmcnt(2)
	v_mul_f16_sdwa v25, v18, v9 dst_sel:DWORD dst_unused:UNUSED_PAD src0_sel:DWORD src1_sel:WORD_1
	v_mul_f64 v[7:8], v[7:8], s[22:23]
	v_and_b32_e32 v23, 7, v10
	v_med3_i32 v14, v14, 0, 13
	v_cndmask_b32_e32 v11, v11, v4, vcc_lo
	v_lshrrev_b32_e32 v4, 2, v10
	v_fmac_f16_e32 v25, v2, v9
	v_cmp_lt_i32_e32 vcc_lo, 5, v23
	v_cmp_eq_u32_e64 s0, 3, v23
	v_lshrrev_b32_e32 v20, v14, v24
	v_lshrrev_b32_e32 v23, 16, v5
	v_cvt_f32_f16_e32 v5, v25
	v_add_nc_u32_e32 v21, 0xfffffc10, v21
	s_or_b32 vcc_lo, s0, vcc_lo
	v_lshlrev_b32_e32 v10, v14, v20
	v_add_co_ci_u32_e32 v14, vcc_lo, 0, v4, vcc_lo
	v_cmp_ne_u32_e32 vcc_lo, 0, v12
	v_cvt_f64_f32_e32 v[4:5], v5
	v_mul_f16_sdwa v2, v2, v9 dst_sel:DWORD dst_unused:UNUSED_PAD src0_sel:DWORD src1_sel:WORD_1
	v_and_or_b32 v11, 0x8000, v23, v11
	v_cndmask_b32_e64 v12, 0, 1, vcc_lo
	v_cmp_ne_u32_e32 vcc_lo, v10, v24
	v_and_or_b32 v7, 0x1ff, v8, v7
	v_fma_f16 v2, v9, v18, -v2
	v_and_b32_e32 v11, 0xffff, v11
	v_lshl_or_b32 v12, v12, 9, 0x7c00
	v_cndmask_b32_e64 v10, 0, 1, vcc_lo
	v_cmp_gt_i32_e32 vcc_lo, 31, v15
	v_cvt_f32_f16_e32 v2, v2
	v_lshrrev_b32_e32 v24, 16, v3
	v_or_b32_e32 v10, v20, v10
	v_cndmask_b32_e32 v14, 0x7c00, v14, vcc_lo
	v_cmp_eq_u32_e32 vcc_lo, 0x40f, v15
	v_lshl_or_b32 v20, v21, 12, v0
	v_bfe_u32 v15, v8, 20, 11
	v_cndmask_b32_e32 v12, v14, v12, vcc_lo
	v_cmp_gt_i32_e32 vcc_lo, 1, v21
	v_lshrrev_b32_e32 v14, 8, v8
	v_mul_f64 v[4:5], v[4:5], s[22:23]
	v_and_or_b32 v12, 0x8000, v13, v12
	v_cndmask_b32_e32 v10, v20, v10, vcc_lo
	v_cmp_ne_u32_e32 vcc_lo, 0, v7
	v_lshl_or_b32 v18, v12, 16, v11
	v_and_b32_e32 v20, 7, v10
	v_cndmask_b32_e64 v7, 0, 1, vcc_lo
	v_lshrrev_b32_e32 v10, 2, v10
	v_cmp_lt_i32_e32 vcc_lo, 5, v20
	v_and_or_b32 v7, 0xffe, v14, v7
	v_sub_nc_u32_e32 v14, 0x3f1, v15
	v_cmp_eq_u32_e64 s0, 3, v20
	v_or_b32_e32 v13, 0x1000, v7
	v_med3_i32 v14, v14, 0, 13
	s_or_b32 vcc_lo, s0, vcc_lo
	v_and_or_b32 v4, 0x1ff, v5, v4
	v_add_co_ci_u32_e32 v9, vcc_lo, 0, v10, vcc_lo
	v_lshrrev_b32_e32 v20, v14, v13
	v_cmp_gt_i32_e32 vcc_lo, 31, v21
	v_lshlrev_b32_e32 v10, v14, v20
	v_cndmask_b32_e32 v11, 0x7c00, v9, vcc_lo
	v_bfe_u32 v14, v5, 20, 11
	v_cmp_ne_u32_e32 vcc_lo, v10, v13
	v_cvt_f64_f32_e32 v[9:10], v2
	v_add_nc_u32_e32 v2, 0xfffffc10, v15
	v_lshrrev_b32_e32 v13, 8, v5
	v_cndmask_b32_e64 v12, 0, 1, vcc_lo
	v_cmp_ne_u32_e32 vcc_lo, 0, v4
	v_lshl_or_b32 v15, v2, 12, v7
	v_or_b32_e32 v12, v20, v12
	v_cndmask_b32_e64 v4, 0, 1, vcc_lo
	v_cmp_ne_u32_e32 vcc_lo, 0, v0
	v_lshrrev_b32_e32 v20, 16, v1
	v_and_or_b32 v4, 0xffe, v13, v4
	v_cndmask_b32_e64 v0, 0, 1, vcc_lo
	v_cmp_gt_i32_e32 vcc_lo, 1, v2
	v_sub_nc_u32_e32 v13, 0x3f1, v14
	v_lshl_or_b32 v0, v0, 9, 0x7c00
	v_cndmask_b32_e32 v12, v15, v12, vcc_lo
	v_cmp_eq_u32_e32 vcc_lo, 0x40f, v21
	v_or_b32_e32 v15, 0x1000, v4
	v_med3_i32 v13, v13, 0, 13
	v_and_b32_e32 v21, 7, v12
	v_cndmask_b32_e32 v11, v11, v0, vcc_lo
	v_mul_f64 v[0:1], v[9:10], s[22:23]
	v_lshrrev_b32_e32 v23, v13, v15
	v_add_co_u32 v9, vcc_lo, v16, s19
	v_add_co_ci_u32_e32 v10, vcc_lo, s24, v17, vcc_lo
	s_waitcnt vmcnt(1)
	v_mul_f16_sdwa v16, v24, v22 dst_sel:DWORD dst_unused:UNUSED_PAD src0_sel:DWORD src1_sel:WORD_1
	v_and_or_b32 v17, 0x8000, v20, v11
	v_lshlrev_b32_e32 v11, v13, v23
	v_cmp_lt_i32_e32 vcc_lo, 5, v21
	v_cmp_eq_u32_e64 s0, 3, v21
	v_lshrrev_b32_e32 v12, 2, v12
	v_fmac_f16_e32 v16, v3, v22
	v_cmp_ne_u32_e64 s1, v11, v15
	v_add_nc_u32_e32 v13, 0xfffffc10, v14
	s_or_b32 vcc_lo, s0, vcc_lo
	v_add_co_ci_u32_e32 v15, vcc_lo, 0, v12, vcc_lo
	v_cndmask_b32_e64 v11, 0, 1, s1
	v_cvt_f32_f16_e32 v14, v16
	v_cmp_ne_u32_e32 vcc_lo, 0, v7
	v_and_or_b32 v0, 0x1ff, v1, v0
	v_bfe_u32 v20, v1, 20, 11
	v_or_b32_e32 v16, v23, v11
	v_cvt_f64_f32_e32 v[11:12], v14
	v_lshl_or_b32 v14, v13, 12, v4
	v_cndmask_b32_e64 v7, 0, 1, vcc_lo
	v_cmp_gt_i32_e32 vcc_lo, 1, v13
	v_lshl_or_b32 v7, v7, 9, 0x7c00
	v_cndmask_b32_e32 v14, v14, v16, vcc_lo
	v_cmp_ne_u32_e32 vcc_lo, 0, v0
	v_lshrrev_b32_e32 v16, 8, v1
	v_and_b32_e32 v21, 7, v14
	v_cndmask_b32_e64 v0, 0, 1, vcc_lo
	v_cmp_gt_i32_e32 vcc_lo, 31, v2
	v_cmp_eq_u32_e64 s0, 3, v21
	v_and_or_b32 v0, 0xffe, v16, v0
	v_cndmask_b32_e32 v15, 0x7c00, v15, vcc_lo
	v_cmp_eq_u32_e32 vcc_lo, 0x40f, v2
	v_lshrrev_b32_e32 v16, 16, v8
	v_or_b32_e32 v23, 0x1000, v0
	v_cndmask_b32_e32 v2, v15, v7, vcc_lo
	v_sub_nc_u32_e32 v15, 0x3f1, v20
	v_cmp_lt_i32_e32 vcc_lo, 5, v21
	v_mul_f64 v[7:8], v[11:12], s[22:23]
	v_lshrrev_b32_e32 v12, 2, v14
	v_and_or_b32 v2, 0x8000, v16, v2
	v_med3_i32 v11, v15, 0, 13
	s_or_b32 vcc_lo, s0, vcc_lo
	v_and_b32_e32 v14, 0xffff, v17
	v_add_co_ci_u32_e32 v12, vcc_lo, 0, v12, vcc_lo
	v_lshrrev_b32_e32 v15, v11, v23
	v_cmp_ne_u32_e32 vcc_lo, 0, v4
	v_lshl_or_b32 v14, v2, 16, v14
	v_mul_f16_sdwa v16, v3, v22 dst_sel:DWORD dst_unused:UNUSED_PAD src0_sel:DWORD src1_sel:WORD_1
	ds_read2_b32 v[2:3], v6 offset0:41 offset1:68
	v_lshlrev_b32_e32 v11, v11, v15
	v_cndmask_b32_e64 v4, 0, 1, vcc_lo
	v_cmp_gt_i32_e32 vcc_lo, 31, v13
	v_add_nc_u32_e32 v17, 0xfffffc10, v20
	v_lshl_or_b32 v4, v4, 9, 0x7c00
	v_cndmask_b32_e32 v12, 0x7c00, v12, vcc_lo
	v_cmp_ne_u32_e32 vcc_lo, v11, v23
	v_and_or_b32 v7, 0x1ff, v8, v7
	v_fma_f16 v11, v22, v24, -v16
	v_bfe_u32 v16, v8, 20, 11
	v_cndmask_b32_e64 v6, 0, 1, vcc_lo
	v_cmp_eq_u32_e32 vcc_lo, 0x40f, v13
	v_lshl_or_b32 v13, v17, 12, v0
	v_cndmask_b32_e32 v12, v12, v4, vcc_lo
	v_cmp_ne_u32_e32 vcc_lo, 0, v7
	v_or_b32_e32 v4, v15, v6
	v_cvt_f32_f16_e32 v6, v11
	v_lshrrev_b32_e32 v15, 8, v8
	s_waitcnt lgkmcnt(0)
	v_lshrrev_b32_e32 v20, 16, v2
	v_cndmask_b32_e64 v11, 0, 1, vcc_lo
	v_cmp_gt_i32_e32 vcc_lo, 1, v17
	v_cvt_f64_f32_e32 v[6:7], v6
	v_lshrrev_b32_e32 v8, 16, v8
	s_waitcnt vmcnt(0)
	v_mul_f16_sdwa v24, v20, v19 dst_sel:DWORD dst_unused:UNUSED_PAD src0_sel:DWORD src1_sel:WORD_1
	v_and_or_b32 v15, 0xffe, v15, v11
	v_cndmask_b32_e32 v13, v13, v4, vcc_lo
	v_sub_nc_u32_e32 v4, 0x3f1, v16
	v_lshrrev_b32_e32 v11, 16, v5
	v_fmac_f16_e32 v24, v2, v19
	v_or_b32_e32 v22, 0x1000, v15
	v_and_b32_e32 v21, 7, v13
	v_med3_i32 v23, v4, 0, 13
	v_add_co_u32 v4, vcc_lo, v9, s19
	v_add_co_ci_u32_e32 v5, vcc_lo, s24, v10, vcc_lo
	v_lshrrev_b32_e32 v26, v23, v22
	v_cmp_lt_i32_e32 vcc_lo, 5, v21
	v_cmp_eq_u32_e64 s0, 3, v21
	v_and_or_b32 v25, 0x8000, v11, v12
	v_lshrrev_b32_e32 v11, 2, v13
	v_lshlrev_b32_e32 v13, v23, v26
	v_cvt_f32_f16_e32 v12, v24
	s_or_b32 vcc_lo, s0, vcc_lo
	v_mul_f64 v[6:7], v[6:7], s[22:23]
	v_add_co_ci_u32_e32 v21, vcc_lo, 0, v11, vcc_lo
	v_cmp_ne_u32_e32 vcc_lo, v13, v22
	v_cvt_f64_f32_e32 v[11:12], v12
	v_add_nc_u32_e32 v16, 0xfffffc10, v16
	v_mul_f16_sdwa v2, v2, v19 dst_sel:DWORD dst_unused:UNUSED_PAD src0_sel:DWORD src1_sel:WORD_1
	v_cndmask_b32_e64 v13, 0, 1, vcc_lo
	v_cmp_ne_u32_e32 vcc_lo, 0, v0
	v_lshl_or_b32 v22, v16, 12, v15
	v_fma_f16 v2, v19, v20, -v2
	v_or_b32_e32 v13, v26, v13
	v_cndmask_b32_e64 v0, 0, 1, vcc_lo
	v_cmp_gt_i32_e32 vcc_lo, 31, v17
	v_cvt_f32_f16_e32 v2, v2
	v_lshl_or_b32 v0, v0, 9, 0x7c00
	v_cndmask_b32_e32 v19, 0x7c00, v21, vcc_lo
	v_cmp_gt_i32_e32 vcc_lo, 1, v16
	v_and_or_b32 v6, 0x1ff, v7, v6
	v_lshrrev_b32_e32 v20, 8, v7
	v_bfe_u32 v21, v7, 20, 11
	v_lshrrev_b32_e32 v7, 16, v7
	v_cndmask_b32_e32 v13, v22, v13, vcc_lo
	v_cmp_eq_u32_e32 vcc_lo, 0x40f, v17
	v_mul_f64 v[11:12], v[11:12], s[22:23]
	v_cndmask_b32_e32 v17, v19, v0, vcc_lo
	v_lshrrev_b32_e32 v19, 16, v1
	v_cvt_f64_f32_e32 v[0:1], v2
	v_cmp_ne_u32_e32 vcc_lo, 0, v6
	v_and_b32_e32 v2, 7, v13
	v_lshrrev_b32_e32 v13, 2, v13
	v_and_or_b32 v17, 0x8000, v19, v17
	v_and_b32_e32 v19, 0xffff, v25
	v_cndmask_b32_e64 v6, 0, 1, vcc_lo
	v_cmp_lt_i32_e32 vcc_lo, 5, v2
	v_cmp_eq_u32_e64 s0, 3, v2
	v_lshl_or_b32 v2, v17, 16, v19
	v_and_or_b32 v6, 0xffe, v20, v6
	v_sub_nc_u32_e32 v20, 0x3f1, v21
	s_or_b32 vcc_lo, s0, vcc_lo
	v_add_co_ci_u32_e32 v13, vcc_lo, 0, v13, vcc_lo
	v_or_b32_e32 v17, 0x1000, v6
	v_med3_i32 v19, v20, 0, 13
	v_cmp_ne_u32_e32 vcc_lo, 0, v15
	v_and_or_b32 v11, 0x1ff, v12, v11
	v_lshrrev_b32_e32 v22, 8, v12
	v_mul_f64 v[0:1], v[0:1], s[22:23]
	v_lshrrev_b32_e32 v20, v19, v17
	v_cndmask_b32_e64 v15, 0, 1, vcc_lo
	v_cmp_gt_i32_e32 vcc_lo, 31, v16
	v_bfe_u32 v23, v12, 20, 11
	v_lshrrev_b32_e32 v12, 16, v12
	v_lshlrev_b32_e32 v19, v19, v20
	v_lshl_or_b32 v15, v15, 9, 0x7c00
	v_cndmask_b32_e32 v13, 0x7c00, v13, vcc_lo
	v_cmp_ne_u32_e32 vcc_lo, 0, v11
	v_cndmask_b32_e64 v11, 0, 1, vcc_lo
	v_cmp_ne_u32_e32 vcc_lo, v19, v17
	v_add_nc_u32_e32 v19, 0xfffffc10, v21
	v_sub_nc_u32_e32 v21, 0x3f1, v23
	v_and_or_b32 v11, 0xffe, v22, v11
	v_cndmask_b32_e64 v17, 0, 1, vcc_lo
	v_cmp_eq_u32_e32 vcc_lo, 0x40f, v16
	v_lshl_or_b32 v16, v19, 12, v6
	v_and_or_b32 v0, 0x1ff, v1, v0
	v_bfe_u32 v22, v1, 20, 11
	v_cndmask_b32_e32 v13, v13, v15, vcc_lo
	v_or_b32_e32 v15, v20, v17
	v_or_b32_e32 v17, 0x1000, v11
	v_med3_i32 v20, v21, 0, 13
	v_cmp_gt_i32_e32 vcc_lo, 1, v19
	v_lshrrev_b32_e32 v21, 8, v1
	v_and_or_b32 v8, 0x8000, v8, v13
	v_sub_nc_u32_e32 v13, 0x3f1, v22
	v_cndmask_b32_e32 v15, v16, v15, vcc_lo
	v_lshrrev_b32_e32 v16, v20, v17
	v_cmp_ne_u32_e32 vcc_lo, 0, v0
	v_med3_i32 v13, v13, 0, 13
	v_and_b32_e32 v24, 7, v15
	v_lshlrev_b32_e32 v20, v20, v16
	v_cndmask_b32_e64 v0, 0, 1, vcc_lo
	v_lshrrev_b32_e32 v15, 2, v15
	v_cmp_lt_i32_e32 vcc_lo, 5, v24
	v_cmp_ne_u32_e64 s0, v20, v17
	v_and_or_b32 v0, 0xffe, v21, v0
	v_add_nc_u32_e32 v21, 0xfffffc10, v23
	v_cndmask_b32_e64 v17, 0, 1, s0
	v_cmp_eq_u32_e64 s0, 3, v24
	v_or_b32_e32 v20, 0x1000, v0
	v_lshl_or_b32 v23, v21, 12, v11
	v_or_b32_e32 v16, v16, v17
	s_or_b32 vcc_lo, s0, vcc_lo
	v_lshrrev_b32_e32 v17, v13, v20
	v_add_co_ci_u32_e32 v15, vcc_lo, 0, v15, vcc_lo
	v_cmp_gt_i32_e32 vcc_lo, 1, v21
	v_lshlrev_b32_e32 v13, v13, v17
	v_cndmask_b32_e32 v16, v23, v16, vcc_lo
	v_cmp_ne_u32_e32 vcc_lo, 0, v6
	v_cndmask_b32_e64 v6, 0, 1, vcc_lo
	v_cmp_ne_u32_e32 vcc_lo, v13, v20
	v_add_nc_u32_e32 v20, 0xfffffc10, v22
	v_and_b32_e32 v22, 7, v16
	v_lshl_or_b32 v6, v6, 9, 0x7c00
	v_cndmask_b32_e64 v13, 0, 1, vcc_lo
	v_cmp_gt_i32_e32 vcc_lo, 31, v19
	v_cmp_gt_i32_e64 s1, 1, v20
	v_cmp_eq_u32_e64 s0, 3, v22
	v_or_b32_e32 v13, v17, v13
	v_lshl_or_b32 v17, v20, 12, v0
	v_cndmask_b32_e32 v15, 0x7c00, v15, vcc_lo
	v_cmp_lt_i32_e32 vcc_lo, 5, v22
	v_cndmask_b32_e64 v13, v17, v13, s1
	v_cmp_eq_u32_e64 s1, 0x40f, v19
	s_or_b32 vcc_lo, s0, vcc_lo
	v_cndmask_b32_e64 v6, v15, v6, s1
	v_lshrrev_b32_e32 v15, 2, v16
	v_and_b32_e32 v16, 7, v13
	v_lshrrev_b32_e32 v13, 2, v13
	v_cmp_gt_i32_e64 s1, 31, v21
	v_and_or_b32 v6, 0x8000, v7, v6
	v_add_co_ci_u32_e32 v15, vcc_lo, 0, v15, vcc_lo
	v_cmp_ne_u32_e32 vcc_lo, 0, v11
	v_cmp_eq_u32_e64 s0, 3, v16
	v_and_b32_e32 v7, 0xffff, v8
	v_cndmask_b32_e64 v15, 0x7c00, v15, s1
	v_cndmask_b32_e64 v11, 0, 1, vcc_lo
	v_cmp_lt_i32_e32 vcc_lo, 5, v16
	v_lshl_or_b32 v11, v11, 9, 0x7c00
	s_or_b32 vcc_lo, s0, vcc_lo
	v_add_co_ci_u32_e32 v13, vcc_lo, 0, v13, vcc_lo
	v_cmp_ne_u32_e32 vcc_lo, 0, v0
	v_cndmask_b32_e64 v0, 0, 1, vcc_lo
	v_cmp_eq_u32_e32 vcc_lo, 0x40f, v21
	v_lshl_or_b32 v0, v0, 9, 0x7c00
	v_cndmask_b32_e32 v11, v15, v11, vcc_lo
	v_cmp_gt_i32_e32 vcc_lo, 31, v20
	v_and_or_b32 v8, 0x8000, v12, v11
	v_cndmask_b32_e32 v13, 0x7c00, v13, vcc_lo
	v_cmp_eq_u32_e32 vcc_lo, 0x40f, v20
	v_lshrrev_b32_e32 v12, 16, v1
	v_and_b32_e32 v8, 0xffff, v8
	v_cndmask_b32_e32 v11, v13, v0, vcc_lo
	v_add_co_u32 v0, vcc_lo, v4, s19
	v_add_co_ci_u32_e32 v1, vcc_lo, s24, v5, vcc_lo
	v_lshl_or_b32 v13, v6, 16, v7
	v_and_or_b32 v11, 0x8000, v12, v11
	v_add_co_u32 v6, vcc_lo, v0, s19
	v_add_co_ci_u32_e32 v7, vcc_lo, s24, v1, vcc_lo
	v_lshl_or_b32 v8, v11, 16, v8
	v_add_co_u32 v11, vcc_lo, v6, s19
	v_add_co_ci_u32_e32 v12, vcc_lo, s24, v7, vcc_lo
	global_store_dword v[9:10], v18, off
	global_store_dword v[4:5], v14, off
	global_store_dword v[0:1], v2, off
	global_store_dword v[6:7], v13, off
	global_store_dword v[11:12], v8, off
	global_load_dword v0, v27, s[20:21] offset:1296
	v_lshrrev_b32_e32 v1, 16, v3
	s_waitcnt vmcnt(0)
	v_mul_f16_sdwa v2, v1, v0 dst_sel:DWORD dst_unused:UNUSED_PAD src0_sel:DWORD src1_sel:WORD_1
	v_mul_f16_sdwa v4, v3, v0 dst_sel:DWORD dst_unused:UNUSED_PAD src0_sel:DWORD src1_sel:WORD_1
	v_fmac_f16_e32 v2, v3, v0
	v_fma_f16 v0, v0, v1, -v4
	v_cvt_f32_f16_e32 v1, v2
	v_cvt_f32_f16_e32 v2, v0
	v_cvt_f64_f32_e32 v[0:1], v1
	v_cvt_f64_f32_e32 v[2:3], v2
	v_mul_f64 v[0:1], v[0:1], s[22:23]
	v_mul_f64 v[2:3], v[2:3], s[22:23]
	v_and_or_b32 v0, 0x1ff, v1, v0
	v_and_or_b32 v2, 0x1ff, v3, v2
	v_lshrrev_b32_e32 v4, 8, v1
	v_bfe_u32 v5, v1, 20, 11
	v_lshrrev_b32_e32 v6, 8, v3
	v_cmp_ne_u32_e32 vcc_lo, 0, v0
	v_bfe_u32 v7, v3, 20, 11
	v_lshrrev_b32_e32 v1, 16, v1
	v_lshrrev_b32_e32 v3, 16, v3
	v_cndmask_b32_e64 v0, 0, 1, vcc_lo
	v_cmp_ne_u32_e32 vcc_lo, 0, v2
	v_and_or_b32 v0, 0xffe, v4, v0
	v_cndmask_b32_e64 v2, 0, 1, vcc_lo
	v_sub_nc_u32_e32 v4, 0x3f1, v5
	v_add_nc_u32_e32 v5, 0xfffffc10, v5
	v_or_b32_e32 v8, 0x1000, v0
	v_and_or_b32 v2, 0xffe, v6, v2
	v_sub_nc_u32_e32 v6, 0x3f1, v7
	v_med3_i32 v4, v4, 0, 13
	v_add_nc_u32_e32 v7, 0xfffffc10, v7
	v_or_b32_e32 v9, 0x1000, v2
	v_med3_i32 v6, v6, 0, 13
	v_lshrrev_b32_e32 v10, v4, v8
	v_lshrrev_b32_e32 v13, v6, v9
	v_lshlrev_b32_e32 v4, v4, v10
	v_lshlrev_b32_e32 v6, v6, v13
	v_cmp_ne_u32_e32 vcc_lo, v4, v8
	v_lshl_or_b32 v8, v5, 12, v0
	v_cndmask_b32_e64 v4, 0, 1, vcc_lo
	v_cmp_ne_u32_e32 vcc_lo, v6, v9
	v_lshl_or_b32 v9, v7, 12, v2
	v_or_b32_e32 v4, v10, v4
	v_cndmask_b32_e64 v6, 0, 1, vcc_lo
	v_cmp_gt_i32_e32 vcc_lo, 1, v5
	v_or_b32_e32 v6, v13, v6
	v_cndmask_b32_e32 v4, v8, v4, vcc_lo
	v_cmp_gt_i32_e32 vcc_lo, 1, v7
	v_and_b32_e32 v8, 7, v4
	v_cndmask_b32_e32 v6, v9, v6, vcc_lo
	v_lshrrev_b32_e32 v4, 2, v4
	v_cmp_lt_i32_e32 vcc_lo, 5, v8
	v_cmp_eq_u32_e64 s0, 3, v8
	v_and_b32_e32 v9, 7, v6
	v_lshrrev_b32_e32 v6, 2, v6
	s_or_b32 vcc_lo, s0, vcc_lo
	v_cmp_lt_i32_e64 s1, 5, v9
	v_add_co_ci_u32_e32 v4, vcc_lo, 0, v4, vcc_lo
	v_cmp_eq_u32_e64 s2, 3, v9
	v_cmp_ne_u32_e32 vcc_lo, 0, v0
	v_cndmask_b32_e64 v0, 0, 1, vcc_lo
	s_or_b32 vcc_lo, s2, s1
	v_add_co_ci_u32_e32 v6, vcc_lo, 0, v6, vcc_lo
	v_cmp_ne_u32_e32 vcc_lo, 0, v2
	v_lshl_or_b32 v0, v0, 9, 0x7c00
	v_cndmask_b32_e64 v2, 0, 1, vcc_lo
	v_cmp_gt_i32_e32 vcc_lo, 31, v5
	v_lshl_or_b32 v2, v2, 9, 0x7c00
	v_cndmask_b32_e32 v4, 0x7c00, v4, vcc_lo
	v_cmp_gt_i32_e32 vcc_lo, 31, v7
	v_cndmask_b32_e32 v6, 0x7c00, v6, vcc_lo
	v_cmp_eq_u32_e32 vcc_lo, 0x40f, v5
	v_cndmask_b32_e32 v0, v4, v0, vcc_lo
	v_cmp_eq_u32_e32 vcc_lo, 0x40f, v7
	v_and_or_b32 v0, 0x8000, v1, v0
	v_cndmask_b32_e32 v2, v6, v2, vcc_lo
	v_and_b32_e32 v0, 0xffff, v0
	v_and_or_b32 v1, 0x8000, v3, v2
	v_lshl_or_b32 v2, v1, 16, v0
	v_add_co_u32 v0, vcc_lo, v11, s19
	v_add_co_ci_u32_e32 v1, vcc_lo, s24, v12, vcc_lo
	global_store_dword v[0:1], v2, off
.LBB0_15:
	s_endpgm
	.section	.rodata,"a",@progbits
	.p2align	6, 0x0
	.amdhsa_kernel bluestein_single_fwd_len351_dim1_half_op_CI_CI
		.amdhsa_group_segment_fixed_size 4212
		.amdhsa_private_segment_fixed_size 0
		.amdhsa_kernarg_size 104
		.amdhsa_user_sgpr_count 6
		.amdhsa_user_sgpr_private_segment_buffer 1
		.amdhsa_user_sgpr_dispatch_ptr 0
		.amdhsa_user_sgpr_queue_ptr 0
		.amdhsa_user_sgpr_kernarg_segment_ptr 1
		.amdhsa_user_sgpr_dispatch_id 0
		.amdhsa_user_sgpr_flat_scratch_init 0
		.amdhsa_user_sgpr_private_segment_size 0
		.amdhsa_wavefront_size32 1
		.amdhsa_uses_dynamic_stack 0
		.amdhsa_system_sgpr_private_segment_wavefront_offset 0
		.amdhsa_system_sgpr_workgroup_id_x 1
		.amdhsa_system_sgpr_workgroup_id_y 0
		.amdhsa_system_sgpr_workgroup_id_z 0
		.amdhsa_system_sgpr_workgroup_info 0
		.amdhsa_system_vgpr_workitem_id 0
		.amdhsa_next_free_vgpr 129
		.amdhsa_next_free_sgpr 25
		.amdhsa_reserve_vcc 1
		.amdhsa_reserve_flat_scratch 0
		.amdhsa_float_round_mode_32 0
		.amdhsa_float_round_mode_16_64 0
		.amdhsa_float_denorm_mode_32 3
		.amdhsa_float_denorm_mode_16_64 3
		.amdhsa_dx10_clamp 1
		.amdhsa_ieee_mode 1
		.amdhsa_fp16_overflow 0
		.amdhsa_workgroup_processor_mode 1
		.amdhsa_memory_ordered 1
		.amdhsa_forward_progress 0
		.amdhsa_shared_vgpr_count 0
		.amdhsa_exception_fp_ieee_invalid_op 0
		.amdhsa_exception_fp_denorm_src 0
		.amdhsa_exception_fp_ieee_div_zero 0
		.amdhsa_exception_fp_ieee_overflow 0
		.amdhsa_exception_fp_ieee_underflow 0
		.amdhsa_exception_fp_ieee_inexact 0
		.amdhsa_exception_int_div_zero 0
	.end_amdhsa_kernel
	.text
.Lfunc_end0:
	.size	bluestein_single_fwd_len351_dim1_half_op_CI_CI, .Lfunc_end0-bluestein_single_fwd_len351_dim1_half_op_CI_CI
                                        ; -- End function
	.section	.AMDGPU.csdata,"",@progbits
; Kernel info:
; codeLenInByte = 19640
; NumSgprs: 27
; NumVgprs: 129
; ScratchSize: 0
; MemoryBound: 0
; FloatMode: 240
; IeeeMode: 1
; LDSByteSize: 4212 bytes/workgroup (compile time only)
; SGPRBlocks: 3
; VGPRBlocks: 16
; NumSGPRsForWavesPerEU: 27
; NumVGPRsForWavesPerEU: 129
; Occupancy: 7
; WaveLimiterHint : 1
; COMPUTE_PGM_RSRC2:SCRATCH_EN: 0
; COMPUTE_PGM_RSRC2:USER_SGPR: 6
; COMPUTE_PGM_RSRC2:TRAP_HANDLER: 0
; COMPUTE_PGM_RSRC2:TGID_X_EN: 1
; COMPUTE_PGM_RSRC2:TGID_Y_EN: 0
; COMPUTE_PGM_RSRC2:TGID_Z_EN: 0
; COMPUTE_PGM_RSRC2:TIDIG_COMP_CNT: 0
	.text
	.p2alignl 6, 3214868480
	.fill 48, 4, 3214868480
	.type	__hip_cuid_3fbb013ed89852ef,@object ; @__hip_cuid_3fbb013ed89852ef
	.section	.bss,"aw",@nobits
	.globl	__hip_cuid_3fbb013ed89852ef
__hip_cuid_3fbb013ed89852ef:
	.byte	0                               ; 0x0
	.size	__hip_cuid_3fbb013ed89852ef, 1

	.ident	"AMD clang version 19.0.0git (https://github.com/RadeonOpenCompute/llvm-project roc-6.4.0 25133 c7fe45cf4b819c5991fe208aaa96edf142730f1d)"
	.section	".note.GNU-stack","",@progbits
	.addrsig
	.addrsig_sym __hip_cuid_3fbb013ed89852ef
	.amdgpu_metadata
---
amdhsa.kernels:
  - .args:
      - .actual_access:  read_only
        .address_space:  global
        .offset:         0
        .size:           8
        .value_kind:     global_buffer
      - .actual_access:  read_only
        .address_space:  global
        .offset:         8
        .size:           8
        .value_kind:     global_buffer
      - .actual_access:  read_only
        .address_space:  global
        .offset:         16
        .size:           8
        .value_kind:     global_buffer
      - .actual_access:  read_only
        .address_space:  global
        .offset:         24
        .size:           8
        .value_kind:     global_buffer
      - .actual_access:  read_only
        .address_space:  global
        .offset:         32
        .size:           8
        .value_kind:     global_buffer
      - .offset:         40
        .size:           8
        .value_kind:     by_value
      - .address_space:  global
        .offset:         48
        .size:           8
        .value_kind:     global_buffer
      - .address_space:  global
        .offset:         56
        .size:           8
        .value_kind:     global_buffer
      - .address_space:  global
        .offset:         64
        .size:           8
        .value_kind:     global_buffer
      - .address_space:  global
        .offset:         72
        .size:           8
        .value_kind:     global_buffer
      - .offset:         80
        .size:           4
        .value_kind:     by_value
      - .address_space:  global
        .offset:         88
        .size:           8
        .value_kind:     global_buffer
      - .address_space:  global
        .offset:         96
        .size:           8
        .value_kind:     global_buffer
    .group_segment_fixed_size: 4212
    .kernarg_segment_align: 8
    .kernarg_segment_size: 104
    .language:       OpenCL C
    .language_version:
      - 2
      - 0
    .max_flat_workgroup_size: 117
    .name:           bluestein_single_fwd_len351_dim1_half_op_CI_CI
    .private_segment_fixed_size: 0
    .sgpr_count:     27
    .sgpr_spill_count: 0
    .symbol:         bluestein_single_fwd_len351_dim1_half_op_CI_CI.kd
    .uniform_work_group_size: 1
    .uses_dynamic_stack: false
    .vgpr_count:     129
    .vgpr_spill_count: 0
    .wavefront_size: 32
    .workgroup_processor_mode: 1
amdhsa.target:   amdgcn-amd-amdhsa--gfx1030
amdhsa.version:
  - 1
  - 2
...

	.end_amdgpu_metadata
